;; amdgpu-corpus repo=ROCm/rocFFT kind=compiled arch=gfx1201 opt=O3
	.text
	.amdgcn_target "amdgcn-amd-amdhsa--gfx1201"
	.amdhsa_code_object_version 6
	.protected	bluestein_single_back_len1638_dim1_half_op_CI_CI ; -- Begin function bluestein_single_back_len1638_dim1_half_op_CI_CI
	.globl	bluestein_single_back_len1638_dim1_half_op_CI_CI
	.p2align	8
	.type	bluestein_single_back_len1638_dim1_half_op_CI_CI,@function
bluestein_single_back_len1638_dim1_half_op_CI_CI: ; @bluestein_single_back_len1638_dim1_half_op_CI_CI
; %bb.0:
	s_load_b128 s[8:11], s[0:1], 0x28
	v_mul_u32_u24_e32 v1, 0x169, v0
	s_mov_b32 s2, exec_lo
	v_mov_b32_e32 v9, 0
	s_delay_alu instid0(VALU_DEP_2) | instskip(NEXT) | instid1(VALU_DEP_1)
	v_lshrrev_b32_e32 v1, 16, v1
	v_add_nc_u32_e32 v8, ttmp9, v1
	s_wait_kmcnt 0x0
	s_delay_alu instid0(VALU_DEP_1)
	v_cmpx_gt_u64_e64 s[8:9], v[8:9]
	s_cbranch_execz .LBB0_31
; %bb.1:
	s_clause 0x1
	s_load_b64 s[20:21], s[0:1], 0x0
	s_load_b64 s[8:9], s[0:1], 0x38
	v_mul_lo_u16 v1, 0xb6, v1
	s_delay_alu instid0(VALU_DEP_1) | instskip(NEXT) | instid1(VALU_DEP_1)
	v_sub_nc_u16 v0, v0, v1
	v_and_b32_e32 v41, 0xffff, v0
	v_cmp_gt_u16_e32 vcc_lo, 0x7e, v0
	s_delay_alu instid0(VALU_DEP_2)
	v_lshlrev_b32_e32 v40, 2, v41
	s_and_saveexec_b32 s3, vcc_lo
	s_cbranch_execz .LBB0_3
; %bb.2:
	s_load_b64 s[4:5], s[0:1], 0x18
	s_delay_alu instid0(VALU_DEP_1)
	v_add_nc_u32_e32 v29, 0xa00, v40
	s_wait_kmcnt 0x0
	s_load_b128 s[4:7], s[4:5], 0x0
	s_wait_kmcnt 0x0
	v_mad_co_u64_u32 v[0:1], null, s6, v8, 0
	v_mad_co_u64_u32 v[2:3], null, s4, v41, 0
	s_delay_alu instid0(VALU_DEP_1) | instskip(NEXT) | instid1(VALU_DEP_1)
	v_mad_co_u64_u32 v[4:5], null, s7, v8, v[1:2]
	v_mad_co_u64_u32 v[5:6], null, s5, v41, v[3:4]
	v_mov_b32_e32 v1, v4
	s_mul_u64 s[4:5], s[4:5], 0x1f8
	s_delay_alu instid0(VALU_DEP_1) | instskip(NEXT) | instid1(VALU_DEP_3)
	v_lshlrev_b64_e32 v[0:1], 2, v[0:1]
	v_mov_b32_e32 v3, v5
	s_clause 0x7
	global_load_b32 v4, v40, s[20:21]
	global_load_b32 v5, v40, s[20:21] offset:504
	global_load_b32 v6, v40, s[20:21] offset:1008
	;; [unrolled: 1-line block ×7, first 2 shown]
	v_add_co_u32 v0, s2, s10, v0
	v_lshlrev_b64_e32 v[2:3], 2, v[2:3]
	v_add_co_ci_u32_e64 v1, s2, s11, v1, s2
	s_delay_alu instid0(VALU_DEP_2) | instskip(SKIP_1) | instid1(VALU_DEP_2)
	v_add_co_u32 v0, s2, v0, v2
	s_wait_alu 0xf1ff
	v_add_co_ci_u32_e64 v1, s2, v1, v3, s2
	global_load_b32 v13, v[0:1], off
	s_wait_alu 0xfffe
	v_add_co_u32 v0, s2, v0, s4
	s_wait_alu 0xf1ff
	v_add_co_ci_u32_e64 v1, s2, s5, v1, s2
	s_clause 0x3
	global_load_b32 v14, v40, s[20:21] offset:4032
	global_load_b32 v15, v40, s[20:21] offset:4536
	;; [unrolled: 1-line block ×4, first 2 shown]
	global_load_b32 v18, v[0:1], off
	v_add_co_u32 v0, s2, v0, s4
	s_wait_alu 0xf1ff
	v_add_co_ci_u32_e64 v1, s2, s5, v1, s2
	global_load_b32 v19, v40, s[20:21] offset:6048
	v_add_co_u32 v2, s2, v0, s4
	s_wait_alu 0xf1ff
	v_add_co_ci_u32_e64 v3, s2, s5, v1, s2
	global_load_b32 v20, v[0:1], off
	v_add_co_u32 v0, s2, v2, s4
	s_wait_alu 0xf1ff
	v_add_co_ci_u32_e64 v1, s2, s5, v3, s2
	s_clause 0x1
	global_load_b32 v21, v[2:3], off
	global_load_b32 v22, v[0:1], off
	v_add_co_u32 v0, s2, v0, s4
	s_wait_alu 0xf1ff
	v_add_co_ci_u32_e64 v1, s2, s5, v1, s2
	s_delay_alu instid0(VALU_DEP_2) | instskip(SKIP_1) | instid1(VALU_DEP_2)
	v_add_co_u32 v2, s2, v0, s4
	s_wait_alu 0xf1ff
	v_add_co_ci_u32_e64 v3, s2, s5, v1, s2
	global_load_b32 v23, v[0:1], off
	v_add_co_u32 v0, s2, v2, s4
	s_wait_alu 0xf1ff
	v_add_co_ci_u32_e64 v1, s2, s5, v3, s2
	global_load_b32 v24, v[2:3], off
	global_load_b32 v25, v[0:1], off
	v_add_co_u32 v0, s2, v0, s4
	s_wait_alu 0xf1ff
	v_add_co_ci_u32_e64 v1, s2, s5, v1, s2
	s_delay_alu instid0(VALU_DEP_2) | instskip(SKIP_1) | instid1(VALU_DEP_2)
	v_add_co_u32 v2, s2, v0, s4
	s_wait_alu 0xf1ff
	v_add_co_ci_u32_e64 v3, s2, s5, v1, s2
	global_load_b32 v26, v[0:1], off
	v_add_co_u32 v0, s2, v2, s4
	s_wait_alu 0xf1ff
	v_add_co_ci_u32_e64 v1, s2, s5, v3, s2
	global_load_b32 v27, v[2:3], off
	;; [unrolled: 4-line block ×4, first 2 shown]
	global_load_b32 v0, v[0:1], off
	v_add_nc_u32_e32 v1, 0x200, v40
	v_add_nc_u32_e32 v3, 0x600, v40
	s_wait_loadcnt 0x19
	v_lshrrev_b32_e32 v30, 16, v4
	s_wait_loadcnt 0x18
	v_lshrrev_b32_e32 v31, 16, v5
	;; [unrolled: 2-line block ×9, first 2 shown]
	v_mul_f16_e32 v45, v30, v13
	s_wait_loadcnt 0x10
	v_lshrrev_b32_e32 v38, 16, v14
	s_wait_loadcnt 0xf
	v_lshrrev_b32_e32 v42, 16, v15
	;; [unrolled: 2-line block ×3, first 2 shown]
	v_mul_f16_e32 v30, v30, v39
	s_wait_loadcnt 0xc
	v_lshrrev_b32_e32 v46, 16, v18
	v_mul_f16_e32 v48, v31, v18
	v_fma_f16 v39, v4, v39, -v45
	v_lshrrev_b32_e32 v44, 16, v17
	v_fmac_f16_e32 v30, v4, v13
	v_mul_f16_e32 v4, v31, v46
	v_fma_f16 v31, v5, v46, -v48
	s_wait_loadcnt 0xb
	v_lshrrev_b32_e32 v47, 16, v19
	s_wait_loadcnt 0xa
	v_lshrrev_b32_e32 v13, 16, v20
	v_mul_f16_e32 v45, v32, v20
	v_fmac_f16_e32 v4, v5, v18
	v_pack_b32_f16 v30, v30, v39
	s_delay_alu instid0(VALU_DEP_4)
	v_mul_f16_e32 v5, v32, v13
	s_wait_loadcnt 0x9
	v_lshrrev_b32_e32 v18, 16, v21
	v_mul_f16_e32 v32, v33, v21
	v_fma_f16 v13, v6, v13, -v45
	v_pack_b32_f16 v4, v4, v31
	v_fmac_f16_e32 v5, v6, v20
	v_mul_f16_e32 v6, v33, v18
	s_wait_loadcnt 0x8
	v_lshrrev_b32_e32 v20, 16, v22
	v_fma_f16 v18, v7, v18, -v32
	v_mul_f16_e32 v31, v34, v22
	ds_store_2addr_b32 v40, v30, v4 offset1:126
	v_pack_b32_f16 v4, v5, v13
	v_fmac_f16_e32 v6, v7, v21
	v_mul_f16_e32 v5, v34, v20
	s_wait_loadcnt 0x7
	v_lshrrev_b32_e32 v7, 16, v23
	v_mul_f16_e32 v13, v35, v23
	v_fma_f16 v20, v9, v20, -v31
	v_pack_b32_f16 v6, v6, v18
	v_fmac_f16_e32 v5, v9, v22
	v_mul_f16_e32 v9, v35, v7
	v_fma_f16 v7, v10, v7, -v13
	s_wait_loadcnt 0x6
	v_lshrrev_b32_e32 v13, 16, v24
	ds_store_2addr_b32 v1, v4, v6 offset0:124 offset1:250
	v_pack_b32_f16 v1, v5, v20
	v_fmac_f16_e32 v9, v10, v23
	s_wait_loadcnt 0x5
	v_lshrrev_b32_e32 v5, 16, v25
	v_mul_f16_e32 v18, v36, v24
	v_mul_f16_e32 v4, v36, v13
	;; [unrolled: 1-line block ×3, first 2 shown]
	v_pack_b32_f16 v7, v9, v7
	v_mul_f16_e32 v9, v37, v5
	v_fma_f16 v6, v11, v13, -v18
	v_fmac_f16_e32 v4, v11, v24
	s_wait_loadcnt 0x4
	v_lshrrev_b32_e32 v11, 16, v26
	v_fma_f16 v5, v12, v5, -v10
	v_mul_f16_e32 v10, v38, v26
	v_fmac_f16_e32 v9, v12, v25
	s_wait_loadcnt 0x3
	v_lshrrev_b32_e32 v12, 16, v27
	v_pack_b32_f16 v4, v4, v6
	v_mul_f16_e32 v6, v38, v11
	v_fma_f16 v10, v14, v11, -v10
	v_mul_f16_e32 v11, v42, v27
	v_pack_b32_f16 v5, v9, v5
	v_mul_f16_e32 v9, v42, v12
	v_fmac_f16_e32 v6, v14, v26
	s_wait_loadcnt 0x2
	v_lshrrev_b32_e32 v13, 16, v28
	v_fma_f16 v11, v15, v12, -v11
	v_mul_f16_e32 v12, v43, v28
	v_fmac_f16_e32 v9, v15, v27
	s_wait_loadcnt 0x1
	v_lshrrev_b32_e32 v14, 16, v2
	s_wait_loadcnt 0x0
	v_lshrrev_b32_e32 v15, 16, v0
	v_pack_b32_f16 v6, v6, v10
	v_mul_f16_e32 v10, v43, v13
	v_fma_f16 v12, v16, v13, -v12
	v_mul_f16_e32 v13, v44, v2
	v_pack_b32_f16 v9, v9, v11
	v_mul_f16_e32 v11, v44, v14
	v_mul_f16_e32 v18, v47, v15
	v_mul_f16_e32 v20, v47, v0
	v_fmac_f16_e32 v10, v16, v28
	v_fma_f16 v13, v17, v14, -v13
	v_fmac_f16_e32 v11, v17, v2
	v_fmac_f16_e32 v18, v19, v0
	v_fma_f16 v0, v19, v15, -v20
	v_add_nc_u32_e32 v2, 0xe00, v40
	v_pack_b32_f16 v10, v10, v12
	v_add_nc_u32_e32 v12, 0x1200, v40
	v_pack_b32_f16 v11, v11, v13
	v_pack_b32_f16 v0, v18, v0
	ds_store_2addr_b32 v3, v1, v7 offset0:120 offset1:246
	ds_store_2addr_b32 v29, v4, v5 offset0:116 offset1:242
	;; [unrolled: 1-line block ×4, first 2 shown]
	ds_store_b32 v40, v0 offset:6048
.LBB0_3:
	s_or_b32 exec_lo, exec_lo, s3
	v_mov_b32_e32 v2, 0
                                        ; kill: def $vgpr0 killed $sgpr0 killed $exec
	global_wb scope:SCOPE_SE
	s_wait_dscnt 0x0
	s_wait_kmcnt 0x0
	s_barrier_signal -1
	s_barrier_wait -1
	global_inv scope:SCOPE_SE
                                        ; implicit-def: $vgpr13
                                        ; implicit-def: $vgpr1
                                        ; implicit-def: $vgpr5
                                        ; implicit-def: $vgpr7
                                        ; implicit-def: $vgpr10
                                        ; implicit-def: $vgpr12
	s_and_saveexec_b32 s2, vcc_lo
	s_cbranch_execz .LBB0_5
; %bb.4:
	v_add_nc_u32_e32 v0, 0x200, v40
	v_add_nc_u32_e32 v1, 0x600, v40
	;; [unrolled: 1-line block ×5, first 2 shown]
	ds_load_2addr_b32 v[2:3], v40 offset1:126
	ds_load_2addr_b32 v[11:12], v0 offset0:124 offset1:250
	ds_load_2addr_b32 v[9:10], v1 offset0:120 offset1:246
	;; [unrolled: 1-line block ×5, first 2 shown]
	ds_load_b32 v13, v40 offset:6048
.LBB0_5:
	s_wait_alu 0xfffe
	s_or_b32 exec_lo, exec_lo, s2
	s_wait_dscnt 0x0
	v_pk_add_f16 v17, v3, v13 neg_lo:[0,1] neg_hi:[0,1]
	v_pk_add_f16 v15, v13, v3
	v_pk_add_f16 v21, v11, v1 neg_lo:[0,1] neg_hi:[0,1]
	v_lshrrev_b32_e32 v29, 16, v2
	v_pk_add_f16 v23, v1, v11
	v_lshrrev_b32_e32 v14, 16, v17
	v_lshrrev_b32_e32 v64, 16, v15
	v_mul_f16_e32 v58, 0xbb7b, v17
	v_lshrrev_b32_e32 v25, 16, v21
	v_mul_f16_e32 v34, 0xba95, v17
	v_mul_f16_e32 v28, 0xb770, v14
	;; [unrolled: 1-line block ×3, first 2 shown]
	v_fma_f16 v26, v64, 0xb5ac, -v58
	v_mul_f16_e32 v30, 0xba95, v25
	v_fma_f16 v18, v64, 0x388b, -v34
	v_fmamk_f16 v20, v15, 0x3b15, v28
	v_fmamk_f16 v22, v15, 0x2fb7, v39
	v_mul_f16_e32 v54, 0xbb7b, v14
	v_add_f16_e32 v32, v26, v29
	v_fmamk_f16 v26, v23, 0x388b, v30
	v_add_f16_e32 v20, v20, v2
	v_lshrrev_b32_e32 v70, 16, v23
	v_mul_f16_e32 v44, 0xbb7b, v21
	v_mul_f16_e32 v46, 0xb3a8, v25
	;; [unrolled: 1-line block ×3, first 2 shown]
	v_add_f16_e32 v18, v18, v29
	v_add_f16_e32 v22, v22, v2
	v_mul_f16_e32 v61, 0xb94e, v14
	v_fmamk_f16 v14, v15, 0xb5ac, v54
	v_add_f16_e32 v20, v26, v20
	v_fma_f16 v26, v70, 0xb5ac, -v44
	v_fmamk_f16 v35, v23, 0xbbc4, v46
	v_mul_f16_e32 v59, 0x394e, v25
	v_fma_f16 v19, v64, 0x2fb7, -v45
	v_mul_f16_e32 v71, 0xb94e, v17
	v_add_f16_e32 v14, v14, v2
	v_mul_f16_e32 v52, 0xb3a8, v21
	v_add_f16_e32 v18, v26, v18
	v_add_f16_e32 v22, v35, v22
	v_fmamk_f16 v35, v23, 0xb9fd, v59
	v_mul_f16_e32 v63, 0x394e, v21
	v_pk_add_f16 v26, v12, v0 neg_lo:[0,1] neg_hi:[0,1]
	v_add_f16_e32 v19, v19, v29
	v_fmamk_f16 v27, v15, 0xb9fd, v61
	v_fma_f16 v31, v64, 0xb9fd, -v71
	v_fma_f16 v36, v70, 0xbbc4, -v52
	v_mul_f16_e32 v73, 0x3bf1, v25
	v_add_f16_e32 v14, v35, v14
	v_fma_f16 v35, v70, 0xb9fd, -v63
	v_mul_f16_e32 v78, 0x3bf1, v21
	v_lshrrev_b32_e32 v38, 16, v26
	v_add_f16_e32 v27, v27, v2
	v_add_f16_e32 v31, v31, v29
	;; [unrolled: 1-line block ×3, first 2 shown]
	v_fmamk_f16 v36, v23, 0x2fb7, v73
	v_pk_add_f16 v25, v0, v12
	v_add_f16_e32 v42, v35, v32
	v_fma_f16 v32, v70, 0x2fb7, -v78
	v_mul_f16_e32 v35, 0xbbf1, v38
	v_add_f16_e32 v27, v36, v27
	v_lshrrev_b32_e32 v74, 16, v25
	v_mul_f16_e32 v55, 0xb3a8, v26
	v_add_f16_e32 v36, v32, v31
	v_fmamk_f16 v31, v25, 0x2fb7, v35
	v_mul_f16_e32 v56, 0x3b7b, v38
	v_mul_f16_e32 v60, 0x3b7b, v26
	v_fma_f16 v32, v74, 0xbbc4, -v55
	v_mul_f16_e32 v66, 0x3770, v38
	v_add_f16_e32 v20, v31, v20
	v_pk_add_f16 v31, v9, v5 neg_lo:[0,1] neg_hi:[0,1]
	v_fmamk_f16 v47, v25, 0xb5ac, v56
	v_add_f16_e32 v18, v32, v18
	v_fma_f16 v32, v74, 0xb5ac, -v60
	v_mul_f16_e32 v75, 0x3770, v26
	v_lshrrev_b32_e32 v48, 16, v31
	v_add_f16_e32 v22, v47, v22
	v_mul_f16_e32 v82, 0xba95, v38
	v_add_f16_e32 v19, v32, v19
	v_fmamk_f16 v38, v25, 0x3b15, v66
	v_fma_f16 v49, v74, 0x3b15, -v75
	v_pk_add_f16 v32, v5, v9
	v_mul_f16_e32 v47, 0xbb7b, v48
	v_mul_f16_e32 v57, 0x394e, v31
	v_add_f16_e32 v14, v38, v14
	v_add_f16_e32 v38, v49, v42
	v_lshrrev_b32_e32 v80, 16, v32
	v_fmamk_f16 v49, v32, 0xb5ac, v47
	v_pk_mul_f16 v16, 0x3b15388b, v15
	v_fmamk_f16 v50, v25, 0x388b, v82
	v_mul_f16_e32 v62, 0x3770, v48
	v_mul_f16_e32 v65, 0x3770, v31
	v_add_f16_e32 v20, v49, v20
	v_fma_f16 v49, v80, 0xb9fd, -v57
	v_pk_fma_f16 v24, 0xba95b770, v17, v16 op_sel:[0,0,1] op_sel_hi:[1,1,0]
	v_pk_mul_f16 v37, 0x388bb5ac, v23
	v_mul_f16_e32 v87, 0xba95, v26
	v_add_f16_e32 v27, v50, v27
	v_fmamk_f16 v50, v32, 0x3b15, v62
	v_mul_f16_e32 v76, 0xbbf1, v48
	v_add_f16_e32 v18, v49, v18
	v_fma_f16 v49, v80, 0x3b15, -v65
	v_mul_f16_e32 v79, 0xbbf1, v31
	v_mul_f16_e32 v91, 0x33a8, v48
	v_pk_fma_f16 v33, 0xbb7bba95, v21, v37 op_sel:[0,0,1] op_sel_hi:[1,1,0]
	v_pk_mul_f16 v89, 0x2fb7bbc4, v25
	v_fma_f16 v42, v74, 0x388b, -v87
	v_add_f16_e32 v22, v50, v22
	v_fmamk_f16 v50, v32, 0x2fb7, v76
	v_add_f16_e32 v83, v49, v19
	v_fma_f16 v19, v80, 0x2fb7, -v79
	v_mul_f16_e32 v94, 0x33a8, v31
	v_fmamk_f16 v48, v32, 0xbbc4, v91
	v_lshrrev_b32_e32 v49, 16, v24
	v_pk_fma_f16 v43, 0xb3a8bbf1, v26, v89 op_sel:[0,0,1] op_sel_hi:[1,1,0]
	v_add_f16_e32 v36, v42, v36
	v_pk_mul_f16 v42, 0xb5acb9fd, v32
	v_add_f16_e32 v14, v50, v14
	v_add_f16_e32 v38, v19, v38
	v_fma_f16 v19, v80, 0xbbc4, -v94
	v_pk_add_f16 v50, v10, v4 neg_lo:[0,1] neg_hi:[0,1]
	v_add_f16_e32 v27, v48, v27
	v_add_f16_e32 v48, v49, v2
	v_lshrrev_b32_e32 v67, 16, v33
	v_pk_add_f16 v49, v4, v10
	v_pk_fma_f16 v53, 0x394ebb7b, v31, v42 op_sel:[0,0,1] op_sel_hi:[1,1,0]
	v_add_f16_e32 v36, v19, v36
	v_lshrrev_b32_e32 v84, 16, v50
	v_pk_add_f16 v51, v6, v7 neg_lo:[0,1] neg_hi:[0,1]
	v_add_f16_e32 v19, v67, v48
	v_lshrrev_b32_e32 v67, 16, v43
	v_pk_mul_f16 v92, 0xb9fd2fb7, v49
	v_pk_add_f16 v48, v7, v6
	v_mul_f16_e32 v68, 0xb94e, v84
	v_lshrrev_b32_e32 v95, 16, v51
	v_add_f16_e32 v19, v67, v19
	v_lshrrev_b32_e32 v69, 16, v53
	v_pk_fma_f16 v72, 0x3bf1b94e, v50, v92 op_sel:[0,0,1] op_sel_hi:[1,1,0]
	v_pk_mul_f16 v106, 0xbbc43b15, v48
	v_fmamk_f16 v77, v49, 0xb9fd, v68
	v_mul_f16_e32 v67, 0xb3a8, v95
	v_add_f16_e32 v19, v69, v19
	v_lshrrev_b32_e32 v81, 16, v72
	v_pk_fma_f16 v69, 0x3770b3a8, v51, v106 op_sel:[0,0,1] op_sel_hi:[1,1,0]
	v_add_f16_e32 v20, v77, v20
	v_lshrrev_b32_e32 v97, 16, v49
	v_mul_f16_e32 v77, 0x3bf1, v50
	v_fmamk_f16 v85, v48, 0xbbc4, v67
	v_add_f16_e32 v19, v81, v19
	v_lshrrev_b32_e32 v86, 16, v69
	v_mul_f16_e32 v81, 0xba95, v84
	v_mul_f16_e32 v88, 0xba95, v50
	;; [unrolled: 1-line block ×3, first 2 shown]
	v_fma_f16 v90, v97, 0x2fb7, -v77
	v_add_f16_e32 v20, v85, v20
	v_add_f16_e32 v19, v86, v19
	v_fmamk_f16 v85, v49, 0x388b, v81
	v_fma_f16 v86, v97, 0x388b, -v88
	v_mul_f16_e32 v98, 0x33a8, v50
	v_mul_f16_e32 v102, 0x3770, v84
	v_fmamk_f16 v84, v49, 0xbbc4, v96
	v_mul_f16_e32 v103, 0x3770, v50
	v_add_f16_e32 v18, v90, v18
	v_add_f16_e32 v22, v85, v22
	;; [unrolled: 1-line block ×3, first 2 shown]
	v_fma_f16 v85, v97, 0xbbc4, -v98
	v_fmamk_f16 v86, v49, 0x3b15, v102
	v_lshrrev_b32_e32 v100, 16, v48
	v_mul_f16_e32 v83, 0x3770, v51
	v_add_f16_e32 v14, v84, v14
	v_fma_f16 v84, v97, 0x3b15, -v103
	v_add_f16_e32 v38, v85, v38
	v_add_f16_e32 v107, v86, v27
	v_fma_f16 v27, v100, 0x3b15, -v83
	v_mul_f16_e32 v85, 0xb94e, v51
	v_add_f16_e32 v108, v84, v36
	v_pk_fma_f16 v84, 0xba95b770, v17, v16 op_sel:[0,0,1] op_sel_hi:[1,1,0] neg_lo:[0,1,0] neg_hi:[0,1,0]
	v_pk_fma_f16 v86, 0xbb7bba95, v21, v37 op_sel:[0,0,1] op_sel_hi:[1,1,0] neg_lo:[0,1,0] neg_hi:[0,1,0]
	v_add_f16_e32 v36, v27, v18
	v_fma_f16 v16, v100, 0xb9fd, -v85
	v_pk_fma_f16 v89, 0xb3a8bbf1, v26, v89 op_sel:[0,0,1] op_sel_hi:[1,1,0] neg_lo:[0,1,0] neg_hi:[0,1,0]
	v_add_f16_e32 v18, v84, v29
	v_mul_f16_e32 v99, 0x3a95, v95
	s_clause 0x1
	s_load_b64 s[2:3], s[0:1], 0x20
	s_load_b64 s[10:11], s[0:1], 0x8
	v_add_f16_e32 v37, v16, v90
	v_pk_fma_f16 v90, 0x394ebb7b, v31, v42 op_sel:[0,0,1] op_sel_hi:[1,1,0] neg_lo:[0,1,0] neg_hi:[0,1,0]
	v_add_f16_e32 v16, v86, v18
	v_fmamk_f16 v27, v48, 0x388b, v99
	v_mul_f16_e32 v101, 0x3a95, v51
	v_mul_f16_e32 v104, 0xbb7b, v95
	;; [unrolled: 1-line block ×3, first 2 shown]
	v_add_f16_e32 v16, v89, v16
	v_pk_fma_f16 v93, 0x3bf1b94e, v50, v92 op_sel:[0,0,1] op_sel_hi:[1,1,0] neg_lo:[0,1,0] neg_hi:[0,1,0]
	v_mul_f16_e32 v95, 0xb94e, v95
	v_add_f16_e32 v18, v27, v14
	v_fma_f16 v14, v100, 0x388b, -v101
	v_add_f16_e32 v16, v90, v16
	v_fmamk_f16 v42, v48, 0xb5ac, v104
	v_fma_f16 v109, v100, 0xb5ac, -v105
	v_pk_fma_f16 v92, 0x3770b3a8, v51, v106 op_sel:[0,0,1] op_sel_hi:[1,1,0] neg_lo:[0,1,0] neg_hi:[0,1,0]
	v_fmamk_f16 v110, v48, 0xb9fd, v95
	v_add_f16_e32 v106, v93, v16
	v_add_f16_e32 v27, v14, v38
	;; [unrolled: 1-line block ×6, first 2 shown]
	v_mul_lo_u16 v42, v41, 13
	global_wb scope:SCOPE_SE
	s_wait_kmcnt 0x0
	s_barrier_signal -1
	s_barrier_wait -1
	global_inv scope:SCOPE_SE
	s_and_saveexec_b32 s0, vcc_lo
	s_cbranch_execz .LBB0_7
; %bb.6:
	v_mul_f16_e32 v107, 0xb9fd, v64
	v_alignbit_b32 v106, v2, v2, 16
	v_mul_f16_e32 v109, 0x388b, v64
	v_mul_f16_e32 v111, 0x2fb7, v64
	;; [unrolled: 1-line block ×3, first 2 shown]
	v_add_f16_e32 v71, v71, v107
	v_mul_f16_e32 v107, 0x2fb7, v70
	v_mul_f16_e32 v113, 0xb9fd, v15
	;; [unrolled: 1-line block ×3, first 2 shown]
	v_add_f16_e32 v58, v58, v64
	v_add_f16_e32 v71, v71, v29
	v_add_f16_e32 v78, v78, v107
	v_mul_f16_e32 v107, 0x388b, v74
	v_sub_f16_e32 v61, v113, v61
	v_add_f16_e32 v45, v45, v111
	v_add_f16_e32 v34, v34, v109
	v_add_f16_e32 v71, v78, v71
	v_add_f16_e32 v78, v87, v107
	v_mul_f16_e32 v87, 0xbbc4, v80
	v_pk_add_f16 v3, v3, v106 op_sel:[0,1] op_sel_hi:[1,0]
	v_mul_f16_e32 v107, 0xbbc4, v70
	v_mul_f16_e32 v70, 0xb9fd, v70
	v_add_f16_e32 v71, v78, v71
	v_add_f16_e32 v78, v94, v87
	v_mul_f16_e32 v94, 0x3b15, v97
	v_mul_f16_e32 v87, 0x2fb7, v23
	v_add_f16_e32 v61, v61, v2
	v_add_f16_e32 v58, v58, v29
	;; [unrolled: 1-line block ×4, first 2 shown]
	v_mul_f16_e32 v78, 0xbbc4, v74
	v_sub_f16_e32 v73, v87, v73
	v_add_f16_e32 v45, v45, v29
	v_add_f16_e32 v29, v34, v29
	;; [unrolled: 1-line block ×3, first 2 shown]
	v_mul_f16_e32 v94, 0xb5ac, v100
	v_add_f16_e32 v34, v44, v115
	v_pk_add_f16 v3, v11, v3
	v_add_f16_e32 v61, v73, v61
	v_mul_f16_e32 v73, 0xb5ac, v74
	v_add_f16_e32 v94, v105, v94
	v_mul_f16_e32 v74, 0x3b15, v74
	;; [unrolled: 2-line block ×3, first 2 shown]
	v_add_f16_e32 v29, v34, v29
	v_add_f16_e32 v71, v94, v71
	v_mul_f16_e32 v94, 0xb9fd, v80
	v_add_f16_e32 v34, v55, v78
	v_pk_add_f16 v3, v12, v3
	v_sub_f16_e32 v70, v70, v104
	v_mul_f16_e32 v104, 0x2fb7, v97
	v_add_f16_e32 v58, v63, v58
	v_add_f16_e32 v74, v75, v74
	;; [unrolled: 1-line block ×4, first 2 shown]
	v_pk_add_f16 v3, v9, v3
	v_mul_f16_e32 v108, 0x3b15, v15
	v_mul_f16_e32 v110, 0x2fb7, v15
	;; [unrolled: 1-line block ×3, first 2 shown]
	v_add_f16_e32 v58, v74, v58
	v_mul_f16_e32 v74, 0x3b15, v100
	v_add_f16_e32 v29, v34, v29
	v_add_f16_e32 v12, v77, v104
	v_pk_add_f16 v3, v10, v3
	v_mul_f16_e32 v114, 0x388b, v23
	v_sub_f16_e32 v54, v112, v54
	v_sub_f16_e32 v39, v110, v39
	;; [unrolled: 1-line block ×3, first 2 shown]
	v_add_f16_e32 v9, v12, v29
	v_add_f16_e32 v12, v83, v74
	v_pk_add_f16 v3, v6, v3
	v_mul_f16_e32 v113, 0x2fb7, v25
	v_add_f16_e32 v54, v54, v2
	v_add_f16_e32 v39, v39, v2
	;; [unrolled: 1-line block ×3, first 2 shown]
	v_sub_f16_e32 v28, v114, v30
	v_add_f16_e32 v9, v12, v9
	v_bfi_b32 v12, 0xffff, v24, v84
	v_pk_add_f16 v3, v7, v3
	v_mul_f16_e32 v103, 0x388b, v25
	v_add_f16_e32 v2, v28, v2
	v_sub_f16_e32 v28, v113, v35
	v_bfi_b32 v24, 0xffff, v33, v86
	v_pk_add_f16 v3, v4, v3
	v_pk_add_f16 v4, v12, v106
	v_sub_f16_e32 v82, v103, v82
	v_mul_f16_e32 v103, 0xbbc4, v32
	v_add_f16_e32 v2, v28, v2
	v_bfi_b32 v28, 0xffff, v43, v89
	v_pk_add_f16 v3, v5, v3
	v_pk_add_f16 v4, v24, v4
	v_pk_mul_f16 v5, 0xb3a8, v17 op_sel_hi:[0,1]
	v_mul_f16_e32 v116, 0xbbc4, v23
	v_mul_f16_e32 v117, 0xb9fd, v23
	v_add_f16_e32 v61, v82, v61
	v_sub_f16_e32 v82, v103, v91
	v_mul_f16_e32 v103, 0x3b15, v49
	v_add_f16_e32 v52, v52, v107
	v_bfi_b32 v7, 0xffff, v53, v90
	v_pk_add_f16 v0, v0, v3
	v_pk_add_f16 v3, v28, v4
	v_pk_fma_f16 v4, 0xbbc4, v15, v5 op_sel:[0,0,1] op_sel_hi:[0,1,0] neg_lo:[0,0,1] neg_hi:[0,0,1]
	v_pk_fma_f16 v5, 0xbbc4, v15, v5 op_sel:[0,0,1] op_sel_hi:[0,1,0]
	v_pk_mul_f16 v15, 0x3770, v21 op_sel_hi:[0,1]
	v_mul_f16_e32 v87, 0xb5ac, v25
	v_mul_f16_e32 v105, 0x3b15, v25
	v_sub_f16_e32 v102, v103, v102
	v_mul_f16_e32 v103, 0x3b15, v80
	v_sub_f16_e32 v59, v117, v59
	v_add_f16_e32 v45, v52, v45
	v_add_f16_e32 v52, v60, v73
	v_sub_f16_e32 v46, v116, v46
	v_mul_f16_e32 v91, 0xb5ac, v32
	v_add_f16_e32 v61, v82, v61
	v_bfi_b32 v29, 0xffff, v72, v93
	v_pk_add_f16 v0, v1, v0
	v_pk_add_f16 v1, v7, v3
	v_bfi_b32 v3, 0xffff, v4, v5
	v_pk_fma_f16 v7, 0x3b15, v23, v15 op_sel:[0,0,1] op_sel_hi:[0,1,0] neg_lo:[0,0,1] neg_hi:[0,0,1]
	v_pk_fma_f16 v15, 0x3b15, v23, v15 op_sel:[0,0,1] op_sel_hi:[0,1,0]
	v_pk_mul_f16 v17, 0xb94e, v26 op_sel_hi:[0,1]
	v_bfi_b32 v4, 0xffff, v5, v4
	v_mul_f16_e32 v82, 0x3b15, v32
	v_mul_f16_e32 v64, 0x2fb7, v32
	;; [unrolled: 1-line block ×4, first 2 shown]
	v_add_f16_e32 v54, v59, v54
	v_sub_f16_e32 v66, v105, v66
	v_add_f16_e32 v45, v52, v45
	v_add_f16_e32 v52, v65, v103
	;; [unrolled: 1-line block ×3, first 2 shown]
	v_sub_f16_e32 v46, v87, v56
	v_add_f16_e32 v61, v102, v61
	v_mul_f16_e32 v102, 0xb9fd, v49
	v_sub_f16_e32 v6, v91, v47
	v_bfi_b32 v12, 0xffff, v69, v92
	v_pk_add_f16 v0, v13, v0
	v_pk_add_f16 v1, v29, v1
	v_pk_add_f16 v3, v3, v106 op_sel:[0,1] op_sel_hi:[1,0]
	v_bfi_b32 v13, 0xffff, v7, v15
	v_pk_fma_f16 v21, 0xb9fd, v25, v17 op_sel:[0,0,1] op_sel_hi:[0,1,0] neg_lo:[0,0,1] neg_hi:[0,0,1]
	v_pk_fma_f16 v17, 0xb9fd, v25, v17 op_sel:[0,0,1] op_sel_hi:[0,1,0]
	v_pk_mul_f16 v5, 0x3a95, v31 op_sel_hi:[0,1]
	v_pk_add_f16 v4, v4, v106 op_sel:[0,1] op_sel_hi:[1,0]
	v_bfi_b32 v7, 0xffff, v15, v7
	v_mul_f16_e32 v63, 0x388b, v49
	v_mul_f16_e32 v112, 0xbbc4, v49
	;; [unrolled: 1-line block ×3, first 2 shown]
	v_add_f16_e32 v79, v79, v80
	v_add_f16_e32 v54, v66, v54
	v_sub_f16_e32 v64, v64, v76
	v_add_f16_e32 v44, v52, v45
	v_add_f16_e32 v45, v88, v75
	v_add_f16_e32 v39, v46, v39
	v_sub_f16_e32 v46, v82, v62
	v_mul_f16_e32 v117, 0xbbc4, v48
	v_add_f16_e32 v2, v6, v2
	v_sub_f16_e32 v6, v102, v68
	v_pk_add_f16 v1, v12, v1
	v_pk_add_f16 v3, v13, v3
	v_bfi_b32 v12, 0xffff, v21, v17
	v_pk_fma_f16 v13, 0x388b, v32, v5 op_sel:[0,0,1] op_sel_hi:[0,1,0] neg_lo:[0,0,1] neg_hi:[0,0,1]
	v_pk_fma_f16 v5, 0x388b, v32, v5 op_sel:[0,0,1] op_sel_hi:[0,1,0]
	v_pk_mul_f16 v15, 0xbb7b, v50 op_sel_hi:[0,1]
	v_pk_add_f16 v4, v7, v4
	v_bfi_b32 v7, 0xffff, v17, v21
	v_mul_f16_e32 v80, 0xb9fd, v48
	v_mul_f16_e32 v59, 0xb9fd, v100
	;; [unrolled: 1-line block ×4, first 2 shown]
	v_add_f16_e32 v58, v79, v58
	v_add_f16_e32 v79, v98, v97
	;; [unrolled: 1-line block ×3, first 2 shown]
	v_sub_f16_e32 v64, v112, v96
	v_add_f16_e32 v44, v45, v44
	v_add_f16_e32 v39, v46, v39
	v_sub_f16_e32 v45, v63, v81
	v_add_f16_e32 v2, v6, v2
	v_sub_f16_e32 v6, v117, v67
	v_pk_add_f16 v3, v12, v3
	v_bfi_b32 v12, 0xffff, v13, v5
	v_pk_fma_f16 v17, 0xb5ac, v49, v15 op_sel:[0,0,1] op_sel_hi:[0,1,0] neg_lo:[0,0,1] neg_hi:[0,0,1]
	v_pk_fma_f16 v15, 0xb5ac, v49, v15 op_sel:[0,0,1] op_sel_hi:[0,1,0]
	v_pk_mul_f16 v21, 0x3bf1, v51 op_sel_hi:[0,1]
	v_pk_add_f16 v4, v7, v4
	v_bfi_b32 v5, 0xffff, v5, v13
	v_add_f16_e32 v58, v79, v58
	v_add_f16_e32 v66, v101, v100
	;; [unrolled: 1-line block ×3, first 2 shown]
	v_sub_f16_e32 v64, v105, v99
	v_add_f16_e32 v11, v85, v59
	v_add_f16_e32 v39, v45, v39
	v_sub_f16_e32 v30, v80, v95
	v_add_f16_e32 v2, v6, v2
	v_pk_add_f16 v3, v12, v3
	v_bfi_b32 v7, 0xffff, v17, v15
	v_pk_fma_f16 v12, 0x2fb7, v48, v21 op_sel:[0,0,1] op_sel_hi:[0,1,0] neg_lo:[0,0,1] neg_hi:[0,0,1]
	v_pk_fma_f16 v13, 0x2fb7, v48, v21 op_sel:[0,0,1] op_sel_hi:[0,1,0]
	v_pk_add_f16 v4, v5, v4
	v_bfi_b32 v5, 0xffff, v15, v17
	v_and_b32_e32 v6, 0xffff, v42
	v_add_f16_e32 v58, v66, v58
	v_add_f16_e32 v54, v64, v54
	;; [unrolled: 1-line block ×5, first 2 shown]
	v_alignbit_b32 v9, v9, v1, 16
	v_pack_b32_f16 v1, v2, v1
	v_pk_add_f16 v2, v7, v3
	v_bfi_b32 v3, 0xffff, v12, v13
	v_pk_add_f16 v4, v5, v4
	v_bfi_b32 v5, 0xffff, v13, v12
	v_lshlrev_b32_e32 v6, 2, v6
	v_pack_b32_f16 v7, v54, v58
	v_pack_b32_f16 v10, v11, v10
	v_pk_add_f16 v2, v3, v2
	v_pack_b32_f16 v3, v61, v71
	v_pk_add_f16 v4, v5, v4
	v_perm_b32 v5, v16, v14, 0x5040100
	v_perm_b32 v11, v37, v22, 0x5040100
	;; [unrolled: 1-line block ×5, first 2 shown]
	ds_store_b32 v6, v0
	ds_store_2addr_b32 v6, v1, v9 offset0:1 offset1:2
	ds_store_2addr_b32 v6, v10, v7 offset0:3 offset1:4
	;; [unrolled: 1-line block ×6, first 2 shown]
.LBB0_7:
	s_wait_alu 0xfffe
	s_or_b32 exec_lo, exec_lo, s0
	v_add_nc_u32_e32 v0, 0xc00, v40
	v_add_nc_u32_e32 v1, 0x500, v40
	;; [unrolled: 1-line block ×3, first 2 shown]
	global_wb scope:SCOPE_SE
	s_wait_dscnt 0x0
	s_barrier_signal -1
	s_barrier_wait -1
	global_inv scope:SCOPE_SE
	ds_load_2addr_b32 v[2:3], v40 offset1:182
	ds_load_2addr_b32 v[6:7], v0 offset0:51 offset1:233
	ds_load_2addr_b32 v[0:1], v1 offset0:44 offset1:226
	;; [unrolled: 1-line block ×3, first 2 shown]
	v_cmp_gt_u16_e64 s0, 0x5b, v41
	s_delay_alu instid0(VALU_DEP_1)
	s_and_saveexec_b32 s1, s0
	s_cbranch_execz .LBB0_9
; %bb.8:
	ds_load_b32 v14, v40 offset:2912
	ds_load_b32 v18, v40 offset:6188
	s_wait_dscnt 0x1
	v_lshrrev_b32_e32 v16, 16, v14
	s_wait_dscnt 0x0
	v_lshrrev_b32_e32 v27, 16, v18
.LBB0_9:
	s_wait_alu 0xfffe
	s_or_b32 exec_lo, exec_lo, s1
	v_and_b32_e32 v9, 0xff, v41
	v_add_co_u32 v25, s1, 0xb6, v41
	s_wait_alu 0xf1ff
	v_add_co_ci_u32_e64 v26, null, 0, 0, s1
	v_add_co_u32 v23, s1, 0x16c, v41
	v_add_co_u32 v11, null, 0x222, v41
	v_add_nc_u16 v12, v41, 0x2d8
	v_mul_lo_u16 v9, 0x4f, v9
	v_and_b32_e32 v10, 0xffff, v25
	v_and_b32_e32 v13, 0xffff, v23
	;; [unrolled: 1-line block ×4, first 2 shown]
	v_lshrrev_b16 v21, 10, v9
	v_mul_u32_u24_e32 v10, 0x4ec5, v10
	v_mul_u32_u24_e32 v9, 0x4ec5, v13
	;; [unrolled: 1-line block ×4, first 2 shown]
	v_mul_lo_u16 v17, v21, 13
	v_lshrrev_b32_e32 v28, 18, v10
	v_lshrrev_b32_e32 v29, 18, v9
	;; [unrolled: 1-line block ×4, first 2 shown]
	v_sub_nc_u16 v17, v41, v17
	v_mul_lo_u16 v30, v28, 13
	v_mul_lo_u16 v31, v29, 13
	;; [unrolled: 1-line block ×4, first 2 shown]
	v_and_b32_e32 v17, 0xff, v17
	v_sub_nc_u16 v30, v25, v30
	v_sub_nc_u16 v31, v23, v31
	;; [unrolled: 1-line block ×4, first 2 shown]
	v_lshlrev_b32_e32 v32, 2, v17
	v_and_b32_e32 v33, 0xffff, v30
	v_and_b32_e32 v34, 0xffff, v31
	v_and_b32_e32 v35, 0xffff, v11
	v_and_b32_e32 v39, 0xffff, v12
	global_load_b32 v49, v32, s[10:11]
	v_lshlrev_b32_e32 v32, 2, v33
	v_lshlrev_b32_e32 v33, 2, v34
	;; [unrolled: 1-line block ×4, first 2 shown]
	s_clause 0x3
	global_load_b32 v47, v32, s[10:11]
	global_load_b32 v45, v33, s[10:11]
	;; [unrolled: 1-line block ×4, first 2 shown]
	v_mad_u16 v11, v13, 26, v11
	v_mad_u16 v28, v28, 26, v30
	s_wait_dscnt 0x2
	v_lshrrev_b32_e32 v33, 16, v6
	v_mad_u16 v29, v29, 26, v31
	v_and_b32_e32 v21, 0xffff, v21
	v_and_b32_e32 v11, 0xffff, v11
	v_mad_u16 v46, v15, 26, v12
	v_and_b32_e32 v12, 0xffff, v28
	v_lshrrev_b32_e32 v35, 16, v7
	v_and_b32_e32 v13, 0xffff, v29
	v_lshlrev_b32_e32 v52, 2, v11
	s_wait_dscnt 0x0
	v_lshrrev_b32_e32 v58, 16, v4
	v_mul_u32_u24_e32 v21, 26, v21
	v_lshrrev_b32_e32 v60, 16, v5
	v_lshlrev_b32_e32 v50, 2, v12
	v_lshlrev_b32_e32 v51, 2, v13
	s_load_b128 s[4:7], s[2:3], 0x0
	v_add_lshl_u32 v48, v21, v17, 2
	v_lshrrev_b32_e32 v32, 16, v2
	v_lshrrev_b32_e32 v34, 16, v3
	;; [unrolled: 1-line block ×4, first 2 shown]
	v_add_co_ci_u32_e64 v24, null, 0, 0, s1
	global_wb scope:SCOPE_SE
	s_wait_loadcnt 0x0
	s_wait_kmcnt 0x0
	s_barrier_signal -1
	s_barrier_wait -1
	global_inv scope:SCOPE_SE
	v_lshrrev_b32_e32 v57, 16, v49
	v_lshrrev_b32_e32 v56, 16, v47
	;; [unrolled: 1-line block ×3, first 2 shown]
	s_delay_alu instid0(VALU_DEP_3)
	v_mul_f16_e32 v11, v33, v57
	v_lshrrev_b32_e32 v54, 16, v44
	v_mul_f16_e32 v12, v6, v57
	v_mul_f16_e32 v13, v7, v56
	v_lshrrev_b32_e32 v53, 16, v43
	v_fma_f16 v6, v6, v49, -v11
	v_mul_f16_e32 v11, v35, v56
	v_mul_f16_e32 v15, v58, v55
	v_mul_f16_e32 v17, v4, v55
	v_mul_f16_e32 v21, v60, v54
	v_mul_f16_e32 v28, v5, v54
	v_fmac_f16_e32 v12, v33, v49
	v_fma_f16 v7, v7, v47, -v11
	v_fmac_f16_e32 v13, v35, v47
	v_mul_f16_e32 v29, v27, v53
	v_fma_f16 v4, v4, v45, -v15
	v_fmac_f16_e32 v17, v58, v45
	v_fma_f16 v5, v5, v44, -v21
	v_fmac_f16_e32 v28, v60, v44
	v_mul_f16_e32 v30, v18, v53
	v_sub_f16_e32 v6, v2, v6
	v_sub_f16_e32 v11, v32, v12
	;; [unrolled: 1-line block ×4, first 2 shown]
	v_fma_f16 v12, v18, v43, -v29
	v_sub_f16_e32 v4, v0, v4
	v_sub_f16_e32 v17, v39, v17
	;; [unrolled: 1-line block ×4, first 2 shown]
	v_fmac_f16_e32 v30, v27, v43
	v_fma_f16 v2, v2, 2.0, -v6
	v_fma_f16 v15, v32, 2.0, -v11
	v_pack_b32_f16 v6, v6, v11
	v_fma_f16 v3, v3, 2.0, -v7
	v_fma_f16 v11, v34, 2.0, -v13
	v_sub_f16_e32 v21, v14, v12
	v_fma_f16 v0, v0, 2.0, -v4
	v_fma_f16 v12, v39, 2.0, -v17
	;; [unrolled: 1-line block ×4, first 2 shown]
	v_pack_b32_f16 v2, v2, v15
	v_sub_f16_e32 v39, v16, v30
	v_pack_b32_f16 v7, v7, v13
	v_pack_b32_f16 v3, v3, v11
	;; [unrolled: 1-line block ×6, first 2 shown]
	ds_store_2addr_b32 v48, v2, v6 offset1:13
	ds_store_2addr_b32 v50, v3, v7 offset1:13
	;; [unrolled: 1-line block ×4, first 2 shown]
	s_and_saveexec_b32 s1, s0
	s_cbranch_execz .LBB0_11
; %bb.10:
	v_fma_f16 v0, v14, 2.0, -v21
	v_and_b32_e32 v1, 0xffff, v46
	v_fma_f16 v2, v16, 2.0, -v39
	s_delay_alu instid0(VALU_DEP_2) | instskip(NEXT) | instid1(VALU_DEP_2)
	v_lshlrev_b32_e32 v1, 2, v1
	v_pack_b32_f16 v0, v0, v2
	v_perm_b32 v2, v39, v21, 0x5040100
	ds_store_2addr_b32 v1, v0, v2 offset1:13
.LBB0_11:
	s_wait_alu 0xfffe
	s_or_b32 exec_lo, exec_lo, s1
	v_and_b32_e32 v0, 0xff, v41
	v_lshrrev_b32_e32 v6, 19, v10
	v_lshrrev_b32_e32 v7, 19, v9
	global_wb scope:SCOPE_SE
	s_wait_dscnt 0x0
	s_barrier_signal -1
	v_mul_lo_u16 v0, 0x4f, v0
	v_mul_lo_u16 v1, v6, 26
	;; [unrolled: 1-line block ×3, first 2 shown]
	s_barrier_wait -1
	global_inv scope:SCOPE_SE
	v_lshrrev_b16 v9, 11, v0
	v_sub_nc_u16 v10, v25, v1
	v_sub_nc_u16 v17, v23, v2
	v_add_nc_u32_e32 v32, 0x700, v40
	v_add_nc_u32_e32 v33, 0xe80, v40
	v_mul_lo_u16 v0, v9, 26
	v_lshlrev_b16 v1, 3, v10
	v_lshlrev_b16 v2, 3, v17
	v_and_b32_e32 v9, 0xffff, v9
	v_mad_u16 v6, 0x4e, v6, v10
	v_sub_nc_u16 v0, v41, v0
	v_and_b32_e32 v1, 0xffff, v1
	v_and_b32_e32 v2, 0xffff, v2
	v_mad_u16 v7, 0x4e, v7, v17
	v_mul_u32_u24_e32 v9, 0x4e, v9
	v_and_b32_e32 v18, 0xff, v0
	v_add_co_u32 v0, s1, s10, v1
	s_wait_alu 0xf1ff
	v_add_co_ci_u32_e64 v1, null, s11, 0, s1
	s_delay_alu instid0(VALU_DEP_3)
	v_lshlrev_b32_e32 v4, 3, v18
	v_add_co_u32 v2, s1, s10, v2
	s_wait_alu 0xf1ff
	v_add_co_ci_u32_e64 v3, null, s11, 0, s1
	s_clause 0x2
	global_load_b64 v[15:16], v4, s[10:11] offset:52
	global_load_b64 v[13:14], v[0:1], off offset:52
	global_load_b64 v[11:12], v[2:3], off offset:52
	v_add_nc_u32_e32 v2, 0x500, v40
	v_add_nc_u32_e32 v3, 0x1000, v40
	;; [unrolled: 1-line block ×3, first 2 shown]
	ds_load_2addr_b32 v[0:1], v40 offset1:182
	ds_load_b32 v29, v40 offset:5824
	ds_load_2addr_b32 v[27:28], v2 offset0:44 offset1:226
	ds_load_2addr_b32 v[2:3], v3 offset0:68 offset1:250
	;; [unrolled: 1-line block ×3, first 2 shown]
	v_and_b32_e32 v6, 0xffff, v6
	v_and_b32_e32 v7, 0xffff, v7
	v_add_lshl_u32 v60, v9, v18, 2
	global_wb scope:SCOPE_SE
	s_wait_loadcnt_dscnt 0x0
	s_barrier_signal -1
	v_lshlrev_b32_e32 v59, 2, v6
	v_lshlrev_b32_e32 v58, 2, v7
	s_barrier_wait -1
	global_inv scope:SCOPE_SE
	v_cmp_gt_u16_e64 s1, 52, v41
                                        ; implicit-def: $vgpr78
                                        ; implicit-def: $vgpr79
	v_lshrrev_b32_e32 v10, 16, v0
	v_lshrrev_b32_e32 v31, 16, v28
	v_lshrrev_b32_e32 v34, 16, v2
	v_lshrrev_b32_e32 v35, 16, v4
	v_lshrrev_b32_e32 v61, 16, v3
	v_lshrrev_b32_e32 v30, 16, v29
	v_lshrrev_b32_e32 v68, 16, v5
	v_lshrrev_b32_e32 v76, 16, v27
	v_lshrrev_b32_e32 v17, 16, v1
	v_lshrrev_b32_e32 v67, 16, v15
	v_lshrrev_b32_e32 v66, 16, v16
	v_lshrrev_b32_e32 v65, 16, v13
	v_lshrrev_b32_e32 v64, 16, v14
	v_lshrrev_b32_e32 v63, 16, v11
	v_lshrrev_b32_e32 v62, 16, v12
	v_mul_f16_e32 v6, v31, v67
	v_mul_f16_e32 v7, v28, v67
	;; [unrolled: 1-line block ×12, first 2 shown]
	v_fma_f16 v6, v28, v15, -v6
	v_fmac_f16_e32 v7, v31, v15
	v_fma_f16 v2, v2, v16, -v9
	v_fmac_f16_e32 v18, v34, v16
	;; [unrolled: 2-line block ×6, first 2 shown]
	v_add_f16_e32 v29, v6, v2
	v_sub_f16_e32 v30, v7, v18
	v_add_f16_e32 v31, v10, v7
	v_add_f16_e32 v7, v7, v18
	;; [unrolled: 1-line block ×5, first 2 shown]
	v_sub_f16_e32 v73, v74, v77
	v_add_f16_e32 v75, v76, v74
	v_add_f16_e32 v74, v74, v77
	;; [unrolled: 1-line block ×3, first 2 shown]
	v_sub_f16_e32 v6, v6, v2
	v_fma_f16 v0, -0.5, v29, v0
	v_fmac_f16_e32 v10, -0.5, v7
	v_add_f16_e32 v34, v1, v4
	v_sub_f16_e32 v61, v70, v72
	v_add_f16_e32 v68, v17, v70
	v_sub_f16_e32 v4, v4, v3
	v_fmac_f16_e32 v1, -0.5, v35
	v_fmac_f16_e32 v17, -0.5, v69
	v_add_f16_e32 v70, v27, v5
	v_sub_f16_e32 v5, v5, v9
	v_fmac_f16_e32 v27, -0.5, v71
	v_fmac_f16_e32 v76, -0.5, v74
	v_add_f16_e32 v2, v28, v2
	v_add_f16_e32 v18, v31, v18
	v_fmamk_f16 v31, v30, 0x3aee, v0
	v_fmac_f16_e32 v0, 0xbaee, v30
	v_fmamk_f16 v30, v6, 0xbaee, v10
	v_fmac_f16_e32 v10, 0x3aee, v6
	v_add_f16_e32 v3, v34, v3
	v_add_f16_e32 v7, v68, v72
	v_fmamk_f16 v6, v61, 0x3aee, v1
	v_fmamk_f16 v34, v4, 0xbaee, v17
	v_fmac_f16_e32 v1, 0xbaee, v61
	v_fmac_f16_e32 v17, 0x3aee, v4
	v_add_f16_e32 v9, v70, v9
	v_add_f16_e32 v29, v75, v77
	v_fmamk_f16 v28, v73, 0x3aee, v27
	v_fmamk_f16 v75, v5, 0xbaee, v76
	v_fmac_f16_e32 v27, 0xbaee, v73
	v_fmac_f16_e32 v76, 0x3aee, v5
	v_pack_b32_f16 v2, v2, v18
	v_pack_b32_f16 v5, v31, v30
	;; [unrolled: 1-line block ×9, first 2 shown]
	ds_store_2addr_b32 v60, v2, v5 offset1:26
	ds_store_b32 v60, v0 offset:208
	ds_store_2addr_b32 v59, v3, v6 offset1:26
	ds_store_b32 v59, v1 offset:208
	;; [unrolled: 2-line block ×3, first 2 shown]
	global_wb scope:SCOPE_SE
	s_wait_dscnt 0x0
	s_barrier_signal -1
	s_barrier_wait -1
	global_inv scope:SCOPE_SE
	ds_load_2addr_b32 v[30:31], v40 offset1:234
	ds_load_2addr_b32 v[34:35], v32 offset0:20 offset1:254
	ds_load_2addr_b32 v[32:33], v33 offset0:8 offset1:242
	ds_load_b32 v77, v40 offset:5616
	s_and_saveexec_b32 s2, s1
	s_cbranch_execz .LBB0_13
; %bb.12:
	v_add_nc_u32_e32 v0, 0x2c0, v40
	v_add_nc_u32_e32 v1, 0xa00, v40
	;; [unrolled: 1-line block ×3, first 2 shown]
	ds_load_b32 v78, v40 offset:6344
	ds_load_2addr_b32 v[28:29], v0 offset0:6 offset1:240
	ds_load_2addr_b32 v[21:22], v1 offset0:10 offset1:244
	ds_load_2addr_b32 v[19:20], v2 offset0:14 offset1:248
	s_wait_dscnt 0x3
	v_lshrrev_b32_e32 v79, 16, v78
	s_wait_dscnt 0x2
	v_mov_b32_e32 v27, v29
	v_lshrrev_b32_e32 v75, 16, v28
	v_lshrrev_b32_e32 v76, 16, v29
	s_wait_dscnt 0x1
	v_lshrrev_b32_e32 v39, 16, v21
	v_lshrrev_b32_e32 v37, 16, v22
	s_wait_dscnt 0x0
	v_lshrrev_b32_e32 v36, 16, v19
	v_lshrrev_b32_e32 v38, 16, v20
.LBB0_13:
	s_wait_alu 0xfffe
	s_or_b32 exec_lo, exec_lo, s2
	v_lshrrev_b16 v0, 1, v41
	v_lshrrev_b16 v1, 1, v25
	s_wait_dscnt 0x3
	v_lshrrev_b32_e32 v87, 16, v31
	s_wait_dscnt 0x2
	v_lshrrev_b32_e32 v88, 16, v34
	;; [unrolled: 2-line block ×3, first 2 shown]
	v_and_b32_e32 v0, 0x7f, v0
	v_and_b32_e32 v1, 0xffff, v1
	s_wait_dscnt 0x0
	v_lshrrev_b32_e32 v91, 16, v77
	v_lshrrev_b32_e32 v89, 16, v35
	v_lshrrev_b32_e32 v80, 16, v30
	v_mul_lo_u16 v0, 0xd3, v0
	v_mul_u32_u24_e32 v1, 0x6907, v1
	s_delay_alu instid0(VALU_DEP_2) | instskip(NEXT) | instid1(VALU_DEP_2)
	v_lshrrev_b16 v29, 13, v0
	v_lshrrev_b32_e32 v0, 20, v1
	s_delay_alu instid0(VALU_DEP_2) | instskip(NEXT) | instid1(VALU_DEP_2)
	v_mul_lo_u16 v1, 0x4e, v29
	v_mul_lo_u16 v0, 0x4e, v0
	v_and_b32_e32 v29, 0xffff, v29
	s_delay_alu instid0(VALU_DEP_3) | instskip(NEXT) | instid1(VALU_DEP_3)
	v_sub_nc_u16 v1, v41, v1
	v_sub_nc_u16 v61, v25, v0
	s_delay_alu instid0(VALU_DEP_3) | instskip(NEXT) | instid1(VALU_DEP_3)
	v_mul_u32_u24_e32 v29, 0x222, v29
	v_and_b32_e32 v68, 0xff, v1
	s_delay_alu instid0(VALU_DEP_3) | instskip(SKIP_1) | instid1(VALU_DEP_3)
	v_mul_lo_u16 v2, v61, 24
	v_and_b32_e32 v61, 0xffff, v61
	v_mad_co_u64_u32 v[0:1], null, v68, 24, s[10:11]
	s_delay_alu instid0(VALU_DEP_3) | instskip(SKIP_2) | instid1(VALU_DEP_3)
	v_and_b32_e32 v2, 0xffff, v2
	v_add_lshl_u32 v74, v29, v68, 2
	v_lshrrev_b32_e32 v29, 16, v32
	v_add_co_u32 v9, s2, s10, v2
	s_wait_alu 0xf1ff
	v_add_co_ci_u32_e64 v10, null, s11, 0, s2
	s_clause 0x3
	global_load_b128 v[4:7], v[0:1], off offset:260
	global_load_b64 v[17:18], v[0:1], off offset:276
	global_load_b128 v[0:3], v[9:10], off offset:260
	global_load_b64 v[9:10], v[9:10], off offset:276
	v_add_nc_u32_e32 v92, 0x400, v74
	global_wb scope:SCOPE_SE
	s_wait_loadcnt 0x0
	s_barrier_signal -1
	s_barrier_wait -1
	global_inv scope:SCOPE_SE
	v_lshrrev_b32_e32 v86, 16, v4
	v_lshrrev_b32_e32 v85, 16, v5
	;; [unrolled: 1-line block ×12, first 2 shown]
	v_mul_f16_e32 v93, v87, v86
	v_mul_f16_e32 v94, v31, v86
	;; [unrolled: 1-line block ×24, first 2 shown]
	v_fma_f16 v31, v31, v4, -v93
	v_fmac_f16_e32 v94, v87, v4
	v_fma_f16 v34, v34, v5, -v95
	v_fmac_f16_e32 v96, v88, v5
	v_fmac_f16_e32 v100, v29, v7
	v_fma_f16 v29, v33, v17, -v101
	v_fmac_f16_e32 v102, v90, v17
	v_fma_f16 v33, v77, v18, -v103
	v_fmac_f16_e32 v104, v91, v18
	v_fma_f16 v35, v35, v6, -v97
	v_fmac_f16_e32 v98, v89, v6
	v_fma_f16 v32, v32, v7, -v99
	v_fma_f16 v27, v27, v0, -v105
	v_fmac_f16_e32 v106, v76, v0
	v_fma_f16 v21, v21, v1, -v107
	v_fmac_f16_e32 v108, v39, v1
	;; [unrolled: 2-line block ×6, first 2 shown]
	v_add_f16_e32 v37, v31, v33
	v_add_f16_e32 v38, v94, v104
	v_add_f16_e32 v39, v34, v29
	v_add_f16_e32 v76, v96, v102
	v_sub_f16_e32 v31, v31, v33
	v_sub_f16_e32 v33, v94, v104
	;; [unrolled: 1-line block ×4, first 2 shown]
	v_add_f16_e32 v77, v35, v32
	v_add_f16_e32 v78, v98, v100
	v_sub_f16_e32 v32, v32, v35
	v_sub_f16_e32 v35, v100, v98
	v_add_f16_e32 v79, v27, v36
	v_add_f16_e32 v87, v106, v116
	v_sub_f16_e32 v27, v27, v36
	v_sub_f16_e32 v36, v106, v116
	;; [unrolled: 4-line block ×5, first 2 shown]
	v_sub_f16_e32 v37, v37, v77
	v_sub_f16_e32 v38, v38, v78
	;; [unrolled: 1-line block ×4, first 2 shown]
	v_add_f16_e32 v97, v32, v29
	v_add_f16_e32 v98, v35, v34
	v_sub_f16_e32 v99, v32, v29
	v_sub_f16_e32 v100, v35, v34
	v_sub_f16_e32 v34, v34, v33
	v_add_f16_e32 v101, v88, v79
	v_add_f16_e32 v102, v89, v87
	v_sub_f16_e32 v103, v88, v79
	v_sub_f16_e32 v104, v89, v87
	;; [unrolled: 1-line block ×10, first 2 shown]
	v_add_f16_e32 v77, v77, v93
	v_add_f16_e32 v78, v78, v94
	v_sub_f16_e32 v29, v29, v31
	v_sub_f16_e32 v32, v31, v32
	;; [unrolled: 1-line block ×3, first 2 shown]
	v_add_f16_e32 v105, v19, v20
	v_add_f16_e32 v106, v22, v21
	v_sub_f16_e32 v109, v27, v19
	v_sub_f16_e32 v110, v36, v22
	v_add_f16_e32 v31, v97, v31
	v_add_f16_e32 v33, v98, v33
	v_mul_f16_e32 v19, 0x3a52, v37
	v_mul_f16_e32 v20, 0x3a52, v38
	;; [unrolled: 1-line block ×7, first 2 shown]
	v_add_f16_e32 v90, v90, v101
	v_add_f16_e32 v91, v91, v102
	v_mul_f16_e32 v79, 0x3a52, v79
	v_mul_f16_e32 v87, 0x3a52, v87
	;; [unrolled: 1-line block ×8, first 2 shown]
	v_add_f16_e32 v30, v30, v77
	v_add_f16_e32 v80, v80, v78
	v_mul_f16_e32 v93, 0x3b00, v29
	v_add_f16_e32 v27, v105, v27
	v_add_f16_e32 v36, v106, v36
	v_fmamk_f16 v39, v39, 0x2b26, v19
	v_fmamk_f16 v76, v76, 0x2b26, v20
	v_fma_f16 v105, v95, 0x39e0, -v21
	v_fma_f16 v106, v96, 0x39e0, -v22
	;; [unrolled: 1-line block ×4, first 2 shown]
	v_fmamk_f16 v107, v32, 0x3574, v37
	v_fmamk_f16 v108, v35, 0x3574, v38
	v_fma_f16 v29, v29, 0x3b00, -v37
	v_fma_f16 v34, v34, 0x3b00, -v38
	;; [unrolled: 1-line block ×3, first 2 shown]
	v_add_f16_e32 v19, v28, v90
	v_add_f16_e32 v20, v75, v91
	v_fmamk_f16 v28, v88, 0x2b26, v79
	v_fmamk_f16 v37, v89, 0x2b26, v87
	v_fma_f16 v38, v103, 0x39e0, -v97
	v_fma_f16 v75, v104, 0x39e0, -v98
	v_fmamk_f16 v21, v109, 0x3574, v99
	v_fmamk_f16 v22, v110, 0x3574, v100
	v_fma_f16 v88, v111, 0x3b00, -v99
	v_fma_f16 v89, v112, 0x3b00, -v100
	;; [unrolled: 1-line block ×4, first 2 shown]
	v_fmamk_f16 v77, v77, 0xbcab, v30
	v_fmamk_f16 v78, v78, 0xbcab, v80
	v_fma_f16 v32, v32, 0xb574, -v93
	v_fma_f16 v79, v103, 0xb9e0, -v79
	;; [unrolled: 1-line block ×3, first 2 shown]
	v_fmac_f16_e32 v107, 0x370e, v31
	v_fmac_f16_e32 v108, 0x370e, v33
	;; [unrolled: 1-line block ×4, first 2 shown]
	v_pack_b32_f16 v33, v30, v80
	v_fmamk_f16 v30, v90, 0xbcab, v19
	v_fmamk_f16 v80, v91, 0xbcab, v20
	v_fmac_f16_e32 v21, 0x370e, v27
	v_fmac_f16_e32 v22, 0x370e, v36
	;; [unrolled: 1-line block ×6, first 2 shown]
	v_add_f16_e32 v27, v39, v77
	v_add_f16_e32 v36, v76, v78
	v_fmac_f16_e32 v29, 0x370e, v31
	v_fmac_f16_e32 v32, 0x370e, v31
	v_add_f16_e32 v39, v105, v77
	v_add_f16_e32 v76, v106, v78
	;; [unrolled: 1-line block ×11, first 2 shown]
	v_sub_f16_e32 v95, v36, v107
	v_add_f16_e32 v96, v35, v77
	v_sub_f16_e32 v99, v78, v32
	v_sub_f16_e32 v100, v39, v34
	v_add_f16_e32 v101, v29, v76
	v_add_f16_e32 v34, v34, v39
	v_sub_f16_e32 v39, v76, v29
	v_sub_f16_e32 v35, v77, v35
	v_add_f16_e32 v32, v32, v78
	v_sub_f16_e32 v76, v27, v108
	v_add_f16_e32 v36, v107, v36
	v_add_f16_e32 v27, v98, v75
	v_sub_f16_e32 v94, v79, v97
	v_sub_f16_e32 v29, v37, v89
	v_add_f16_e32 v93, v88, v38
	v_add_f16_e32 v30, v89, v37
	v_sub_f16_e32 v91, v38, v88
	v_sub_f16_e32 v89, v75, v98
	v_add_f16_e32 v90, v97, v79
	v_sub_f16_e32 v87, v28, v22
	v_pack_b32_f16 v37, v80, v95
	v_add_f16_e32 v88, v21, v31
	v_pack_b32_f16 v38, v96, v99
	v_pack_b32_f16 v75, v100, v101
	;; [unrolled: 1-line block ×5, first 2 shown]
	ds_store_2addr_b32 v74, v33, v37 offset1:78
	ds_store_2addr_b32 v74, v38, v75 offset0:156 offset1:234
	ds_store_2addr_b32 v92, v34, v32 offset0:56 offset1:134
	ds_store_b32 v74, v35 offset:1872
	s_and_saveexec_b32 s2, s1
	s_cbranch_execz .LBB0_15
; %bb.14:
	v_sub_f16_e32 v21, v31, v21
	v_add_f16_e32 v22, v22, v28
	v_lshlrev_b32_e32 v28, 2, v61
	v_perm_b32 v19, v20, v19, 0x5040100
	v_perm_b32 v31, v93, v29, 0x5040100
	;; [unrolled: 1-line block ×3, first 2 shown]
	v_pack_b32_f16 v20, v22, v21
	v_add_nc_u32_e32 v21, 0x1000, v28
	v_perm_b32 v22, v94, v27, 0x5040100
	v_add_nc_u32_e32 v32, 0x1200, v28
	v_perm_b32 v34, v90, v89, 0x5040100
	;; [unrolled: 2-line block ×3, first 2 shown]
	ds_store_2addr_b32 v21, v19, v20 offset0:68 offset1:146
	ds_store_2addr_b32 v32, v22, v31 offset0:96 offset1:174
	;; [unrolled: 1-line block ×3, first 2 shown]
	ds_store_b32 v28, v36 offset:6240
.LBB0_15:
	s_wait_alu 0xfffe
	s_or_b32 exec_lo, exec_lo, s2
	v_lshlrev_b64_e32 v[21:22], 3, v[25:26]
	v_lshlrev_b64_e32 v[23:24], 3, v[23:24]
	v_lshlrev_b32_e32 v19, 3, v41
	global_wb scope:SCOPE_SE
	s_wait_dscnt 0x0
	s_barrier_signal -1
	s_barrier_wait -1
	v_add_co_u32 v21, s2, s10, v21
	s_wait_alu 0xf1ff
	v_add_co_ci_u32_e64 v22, s2, s11, v22, s2
	global_inv scope:SCOPE_SE
	global_load_b64 v[19:20], v19, s[10:11] offset:2132
	v_add_co_u32 v25, s2, s10, v23
	s_wait_alu 0xf1ff
	v_add_co_ci_u32_e64 v26, s2, s11, v24, s2
	s_clause 0x1
	global_load_b64 v[23:24], v[21:22], off offset:2132
	global_load_b64 v[21:22], v[25:26], off offset:2132
	v_add_nc_u32_e32 v26, 0x500, v40
	v_add_nc_u32_e32 v25, 0x1000, v40
	;; [unrolled: 1-line block ×3, first 2 shown]
	ds_load_2addr_b32 v[33:34], v40 offset1:182
	ds_load_b32 v39, v40 offset:5824
	ds_load_2addr_b32 v[35:36], v26 offset0:44 offset1:226
	ds_load_2addr_b32 v[31:32], v25 offset0:68 offset1:250
	;; [unrolled: 1-line block ×3, first 2 shown]
	s_wait_dscnt 0x3
	v_lshrrev_b32_e32 v92, 16, v39
	s_wait_dscnt 0x2
	v_lshrrev_b32_e32 v95, 16, v36
	;; [unrolled: 2-line block ×4, first 2 shown]
	v_lshrrev_b32_e32 v101, 16, v32
	v_lshrrev_b32_e32 v102, 16, v38
	;; [unrolled: 1-line block ×5, first 2 shown]
	s_wait_loadcnt 0x2
	v_lshrrev_b32_e32 v77, 16, v19
	v_lshrrev_b32_e32 v78, 16, v20
	s_delay_alu instid0(VALU_DEP_2) | instskip(SKIP_1) | instid1(VALU_DEP_3)
	v_mul_f16_e32 v103, v95, v77
	v_mul_f16_e32 v104, v36, v77
	;; [unrolled: 1-line block ×4, first 2 shown]
	s_wait_loadcnt 0x1
	v_lshrrev_b32_e32 v80, 16, v23
	v_lshrrev_b32_e32 v79, 16, v24
	s_wait_loadcnt 0x0
	v_lshrrev_b32_e32 v76, 16, v21
	v_lshrrev_b32_e32 v75, 16, v22
	v_fma_f16 v36, v36, v19, -v103
	v_fmac_f16_e32 v104, v95, v19
	v_fma_f16 v31, v31, v20, -v105
	v_fmac_f16_e32 v106, v96, v20
	v_mul_f16_e32 v95, v97, v80
	v_mul_f16_e32 v96, v37, v80
	;; [unrolled: 1-line block ×8, first 2 shown]
	v_fma_f16 v37, v37, v23, -v95
	v_fmac_f16_e32 v96, v97, v23
	v_fma_f16 v95, v32, v24, -v103
	v_fmac_f16_e32 v105, v101, v24
	v_add_f16_e32 v111, v33, v36
	v_fma_f16 v32, v38, v21, -v107
	v_fmac_f16_e32 v108, v102, v21
	v_fma_f16 v38, v39, v22, -v109
	v_fmac_f16_e32 v110, v92, v22
	v_add_f16_e32 v112, v36, v31
	v_sub_f16_e32 v113, v104, v106
	v_add_f16_e32 v114, v100, v104
	v_add_f16_e32 v104, v104, v106
	;; [unrolled: 1-line block ×3, first 2 shown]
	v_sub_f16_e32 v97, v96, v105
	v_add_f16_e32 v102, v99, v96
	v_add_f16_e32 v96, v96, v105
	v_sub_f16_e32 v115, v36, v31
	v_add_f16_e32 v31, v111, v31
	v_add_f16_e32 v107, v32, v38
	;; [unrolled: 3-line block ×3, first 2 shown]
	v_fma_f16 v36, -0.5, v112, v33
	v_add_f16_e32 v33, v34, v37
	v_add_f16_e32 v92, v114, v106
	v_fmac_f16_e32 v100, -0.5, v104
	v_add_f16_e32 v106, v35, v32
	v_sub_f16_e32 v104, v37, v95
	v_fmac_f16_e32 v34, -0.5, v39
	v_fmac_f16_e32 v99, -0.5, v96
	v_sub_f16_e32 v112, v32, v38
	v_fmac_f16_e32 v35, -0.5, v107
	v_fmac_f16_e32 v98, -0.5, v108
	v_add_f16_e32 v37, v33, v95
	v_add_f16_e32 v103, v102, v105
	v_fmamk_f16 v32, v113, 0x3aee, v36
	v_fmamk_f16 v101, v115, 0xbaee, v100
	v_add_f16_e32 v38, v106, v38
	v_add_f16_e32 v102, v111, v110
	v_fmac_f16_e32 v36, 0xbaee, v113
	v_fmac_f16_e32 v100, 0x3aee, v115
	v_fmamk_f16 v33, v97, 0x3aee, v34
	v_fmac_f16_e32 v34, 0xbaee, v97
	v_fmamk_f16 v105, v104, 0xbaee, v99
	;; [unrolled: 2-line block ×3, first 2 shown]
	v_fmamk_f16 v104, v112, 0xbaee, v98
	v_fmac_f16_e32 v35, 0xbaee, v109
	v_fmac_f16_e32 v98, 0x3aee, v112
	v_pack_b32_f16 v113, v31, v92
	v_pack_b32_f16 v97, v37, v103
	;; [unrolled: 1-line block ×9, first 2 shown]
	ds_store_2addr_b32 v40, v113, v97 offset1:182
	ds_store_2addr_b32 v26, v106, v95 offset0:44 offset1:226
	ds_store_2addr_b32 v25, v96, v108 offset0:68 offset1:250
	;; [unrolled: 1-line block ×3, first 2 shown]
	ds_store_b32 v40, v110 offset:5824
	global_wb scope:SCOPE_SE
	s_wait_dscnt 0x0
	s_barrier_signal -1
	s_barrier_wait -1
	global_inv scope:SCOPE_SE
	s_and_saveexec_b32 s10, vcc_lo
	s_cbranch_execz .LBB0_17
; %bb.16:
	global_load_b32 v26, v40, s[20:21] offset:6552
	s_add_nc_u64 s[2:3], s[20:21], 0x1998
	s_clause 0xb
	global_load_b32 v28, v40, s[2:3] offset:504
	global_load_b32 v97, v40, s[2:3] offset:1008
	;; [unrolled: 1-line block ×12, first 2 shown]
	ds_load_b32 v95, v40
	v_add_nc_u32_e32 v126, 0x400, v40
	v_add_nc_u32_e32 v127, 0x800, v40
	;; [unrolled: 1-line block ×3, first 2 shown]
	s_wait_dscnt 0x0
	v_lshrrev_b32_e32 v96, 16, v95
	s_wait_loadcnt 0xb
	v_lshrrev_b32_e32 v129, 16, v28
	s_wait_loadcnt 0xa
	;; [unrolled: 2-line block ×8, first 2 shown]
	v_lshrrev_b32_e32 v136, 16, v121
	v_lshrrev_b32_e32 v106, 16, v26
	s_wait_loadcnt 0x3
	v_lshrrev_b32_e32 v137, 16, v122
	s_wait_loadcnt 0x2
	;; [unrolled: 2-line block ×4, first 2 shown]
	v_lshrrev_b32_e32 v140, 16, v125
	v_mul_f16_e32 v107, v96, v106
	v_mul_f16_e32 v106, v95, v106
	s_delay_alu instid0(VALU_DEP_2) | instskip(NEXT) | instid1(VALU_DEP_2)
	v_fma_f16 v95, v95, v26, -v107
	v_fmac_f16_e32 v106, v96, v26
	s_delay_alu instid0(VALU_DEP_1)
	v_pack_b32_f16 v26, v95, v106
	ds_store_b32 v40, v26
	v_add_nc_u32_e32 v26, 0xc00, v40
	ds_load_2addr_b32 v[95:96], v40 offset0:126 offset1:252
	ds_load_2addr_b32 v[106:107], v126 offset0:122 offset1:248
	;; [unrolled: 1-line block ×6, first 2 shown]
	s_wait_dscnt 0x5
	v_lshrrev_b32_e32 v141, 16, v95
	v_lshrrev_b32_e32 v143, 16, v96
	s_wait_dscnt 0x4
	v_lshrrev_b32_e32 v145, 16, v106
	v_lshrrev_b32_e32 v147, 16, v107
	;; [unrolled: 3-line block ×4, first 2 shown]
	v_lshrrev_b32_e32 v157, 16, v112
	v_lshrrev_b32_e32 v159, 16, v113
	v_mul_f16_e64 v142, v95, v129
	v_mul_f16_e64 v144, v96, v130
	s_wait_dscnt 0x0
	v_lshrrev_b32_e32 v161, 16, v114
	v_lshrrev_b32_e32 v163, 16, v115
	v_mul_f16_e64 v129, v141, v129
	v_mul_f16_e64 v130, v143, v130
	;; [unrolled: 1-line block ×20, first 2 shown]
	v_fmac_f16_e64 v142, v141, v28
	v_fmac_f16_e64 v144, v143, v97
	v_mul_f16_e64 v139, v161, v139
	v_mul_f16_e64 v140, v163, v140
	v_fma_f16 v28, v95, v28, -v129
	v_fma_f16 v95, v96, v97, -v130
	v_fmac_f16_e64 v146, v145, v116
	v_fmac_f16_e64 v148, v147, v117
	v_fma_f16 v96, v106, v116, -v131
	v_fma_f16 v97, v107, v117, -v132
	v_fmac_f16_e64 v150, v149, v118
	v_fmac_f16_e64 v152, v151, v119
	;; [unrolled: 4-line block ×5, first 2 shown]
	v_fma_f16 v112, v114, v124, -v139
	v_fma_f16 v113, v115, v125, -v140
	v_pack_b32_f16 v28, v28, v142
	v_pack_b32_f16 v95, v95, v144
	;; [unrolled: 1-line block ×12, first 2 shown]
	ds_store_2addr_b32 v40, v28, v95 offset0:126 offset1:252
	ds_store_2addr_b32 v126, v96, v97 offset0:122 offset1:248
	;; [unrolled: 1-line block ×6, first 2 shown]
.LBB0_17:
	s_wait_alu 0xfffe
	s_or_b32 exec_lo, exec_lo, s10
	global_wb scope:SCOPE_SE
	s_wait_dscnt 0x0
	s_barrier_signal -1
	s_barrier_wait -1
	global_inv scope:SCOPE_SE
	s_and_saveexec_b32 s2, vcc_lo
	s_cbranch_execz .LBB0_19
; %bb.18:
	v_add_nc_u32_e32 v25, 0x200, v40
	v_add_nc_u32_e32 v26, 0x600, v40
	;; [unrolled: 1-line block ×3, first 2 shown]
	ds_load_2addr_b32 v[31:32], v40 offset1:126
	ds_load_b32 v89, v40 offset:6048
	ds_load_2addr_b32 v[36:37], v25 offset0:124 offset1:250
	v_add_nc_u32_e32 v25, 0xe00, v40
	v_add_nc_u32_e32 v28, 0x1200, v40
	ds_load_2addr_b32 v[33:34], v26 offset0:120 offset1:246
	ds_load_2addr_b32 v[38:39], v27 offset0:116 offset1:242
	;; [unrolled: 1-line block ×4, first 2 shown]
	s_wait_dscnt 0x6
	v_lshrrev_b32_e32 v92, 16, v31
	v_lshrrev_b32_e32 v101, 16, v32
	s_wait_dscnt 0x5
	v_lshrrev_b32_e32 v90, 16, v89
	s_wait_dscnt 0x4
	v_lshrrev_b32_e32 v100, 16, v36
	v_lshrrev_b32_e32 v103, 16, v37
	s_wait_dscnt 0x1
	v_mov_b32_e32 v35, v26
	v_lshrrev_b32_e32 v105, 16, v33
	v_lshrrev_b32_e32 v99, 16, v34
	;; [unrolled: 1-line block ×6, first 2 shown]
	s_wait_dscnt 0x0
	v_lshrrev_b32_e32 v93, 16, v29
	v_lshrrev_b32_e32 v91, 16, v30
.LBB0_19:
	s_wait_alu 0xfffe
	s_or_b32 exec_lo, exec_lo, s2
	v_add_f16_e32 v106, v90, v101
	v_sub_f16_e64 v154, v101, v90
	v_sub_f16_e32 v107, v32, v89
	v_add_f16_e64 v153, v89, v32
	v_add_f16_e32 v110, v91, v100
	v_mul_f16_e32 v112, 0xb5ac, v106
	v_mul_f16_e64 v168, 0xbb7b, v154
	v_mul_f16_e64 v158, 0xba95, v154
	v_mul_f16_e64 v169, 0xb94e, v154
	v_mul_f16_e64 v155, 0xb770, v154
	v_fmamk_f16 v109, v107, 0xbb7b, v112
	v_fma_f16 v108, v153, 0xb5ac, -v168
	v_mul_f16_e64 v147, 0x3b15, v106
	v_mul_f16_e32 v125, 0x388b, v106
	v_fma_f16 v28, v153, 0x388b, -v158
	v_add_f16_e32 v114, v92, v109
	v_sub_f16_e32 v109, v100, v91
	v_add_f16_e32 v113, v31, v108
	v_add_f16_e32 v108, v30, v36
	v_fma_f16 v115, v153, 0xb9fd, -v169
	v_fma_f16 v25, v153, 0x3b15, -v155
	v_mul_f16_e64 v133, 0xbb7b, v109
	v_fma_f16 v26, 0xb770, v107, v147
	v_mul_f16_e64 v132, 0x2fb7, v106
	v_add_f16_e32 v28, v31, v28
	v_fmamk_f16 v95, v107, 0xba95, v125
	v_sub_f16_e32 v111, v36, v30
	v_mul_f16_e64 v163, 0xba95, v109
	v_mul_f16_e64 v164, 0x388b, v110
	v_add_f16_e32 v122, v31, v115
	v_fma_f16 v115, v108, 0xb5ac, -v133
	v_mul_f16_e64 v138, 0xb5ac, v110
	v_mul_f16_e64 v161, 0xbbf1, v154
	v_add_f16_e32 v25, v31, v25
	v_add_f16_e32 v26, v92, v26
	v_fma_f16 v97, 0xbbf1, v107, v132
	v_add_f16_e32 v95, v92, v95
	v_mul_f16_e32 v120, 0xb9fd, v106
	v_fma_f16 v117, v108, 0x388b, -v163
	v_fma_f16 v118, 0xba95, v111, v164
	v_add_f16_e32 v28, v115, v28
	v_mul_f16_e64 v144, 0xbbc4, v110
	v_mul_f16_e32 v119, 0x394e, v109
	v_fma_f16 v115, 0xbb7b, v111, v138
	v_mul_f16_e32 v121, 0xb9fd, v110
	v_fma_f16 v96, v153, 0x2fb7, -v161
	v_add_f16_e32 v97, v92, v97
	v_fmamk_f16 v116, v107, 0xb94e, v120
	v_add_f16_e32 v25, v117, v25
	v_add_f16_e32 v26, v118, v26
	v_mul_f16_e64 v140, 0xb3a8, v109
	v_fma_f16 v117, 0xb3a8, v111, v144
	v_fma_f16 v118, v108, 0xb9fd, -v119
	v_add_f16_e32 v95, v115, v95
	v_fmamk_f16 v115, v111, 0x394e, v121
	v_mul_f16_e32 v126, 0x3bf1, v109
	v_add_f16_e32 v96, v31, v96
	v_add_f16_e32 v123, v92, v116
	v_fma_f16 v116, v108, 0xbbc4, -v140
	v_add_f16_e32 v97, v117, v97
	v_add_f16_e32 v117, v118, v113
	v_add_f16_e32 v118, v115, v114
	v_mul_f16_e64 v131, 0x2fb7, v110
	v_sub_f16_e32 v114, v103, v93
	v_add_f16_e32 v115, v93, v103
	v_fma_f16 v124, v108, 0x2fb7, -v126
	v_add_f16_e32 v96, v116, v96
	v_add_f16_e32 v113, v29, v37
	v_sub_f16_e32 v116, v37, v29
	v_mul_f16_e64 v175, 0xbbf1, v114
	v_add_f16_e32 v122, v124, v122
	v_fma_f16 v124, 0x3bf1, v111, v131
	v_mul_f16_e64 v151, 0xbbc4, v115
	v_mul_f16_e64 v156, 0x3b7b, v114
	v_fma_f16 v127, v113, 0x2fb7, -v175
	v_mul_f16_e64 v130, 0x3770, v114
	v_add_f16_e64 v135, v124, v123
	v_fma_f16 v123, 0xb3a8, v116, v151
	v_mul_f16_e64 v178, 0x2fb7, v115
	v_add_f16_e32 v25, v127, v25
	v_mul_f16_e64 v165, 0xb5ac, v115
	v_fma_f16 v127, v113, 0x3b15, -v130
	v_add_f16_e32 v95, v123, v95
	v_fma_f16 v123, v113, 0xb5ac, -v156
	v_mul_f16_e64 v139, 0xba95, v114
	v_mul_f16_e64 v143, 0xb3a8, v114
	v_fma_f16 v128, 0xbbf1, v116, v178
	v_mul_f16_e64 v134, 0x3b15, v115
	v_fma_f16 v124, 0x3b7b, v116, v165
	v_add_f16_e32 v96, v123, v96
	v_add_f16_e32 v117, v127, v117
	v_fma_f16 v127, v113, 0x388b, -v139
	v_sub_f16_e32 v123, v105, v94
	v_fma_f16 v129, v113, 0xbbc4, -v143
	v_add_f16_e64 v26, v128, v26
	v_fma_f16 v128, 0x3770, v116, v134
	v_add_f16_e32 v97, v124, v97
	v_mul_f16_e64 v146, 0x388b, v115
	v_add_f16_e32 v124, v94, v105
	v_add_f16_e32 v127, v127, v122
	;; [unrolled: 1-line block ×3, first 2 shown]
	v_mul_f16_e64 v183, 0xbb7b, v123
	v_add_f16_e64 v28, v129, v28
	v_add_f16_e64 v118, v128, v118
	v_sub_f16_e64 v129, v33, v27
	v_fma_f16 v128, 0xba95, v116, v146
	v_mul_f16_e64 v159, 0x394e, v123
	v_fma_f16 v136, v122, 0xb5ac, -v183
	v_mul_f16_e64 v167, 0xb9fd, v124
	v_mul_f16_e64 v185, 0xb5ac, v124
	v_add_f16_e64 v128, v128, v135
	v_fma_f16 v135, v122, 0xb9fd, -v159
	v_add_f16_e64 v25, v136, v25
	v_fma_f16 v136, 0x394e, v129, v167
	v_mul_f16_e64 v170, 0x3770, v123
	v_mul_f16_e64 v177, 0x3b15, v124
	v_fma_f16 v137, 0xbb7b, v129, v185
	v_add_f16_e64 v28, v135, v28
	v_add_f16_e64 v95, v136, v95
	v_mul_f16_e64 v142, 0xbbf1, v123
	v_fma_f16 v135, v122, 0x3b15, -v170
	v_mul_f16_e64 v145, 0x2fb7, v124
	v_fma_f16 v136, 0x3770, v129, v177
	v_add_f16_e64 v26, v137, v26
	v_mul_f16_e64 v157, 0x33a8, v123
	v_fma_f16 v137, v122, 0x2fb7, -v142
	v_add_f16_e64 v96, v135, v96
	v_fma_f16 v135, 0xbbf1, v129, v145
	v_add_f16_e64 v97, v136, v97
	v_mul_f16_e64 v162, 0xbbc4, v124
	v_sub_f16_e64 v136, v99, v98
	v_fma_f16 v141, v122, 0xbbc4, -v157
	v_add_f16_e64 v117, v137, v117
	v_add_f16_e64 v118, v135, v118
	v_add_f16_e64 v137, v98, v99
	v_fma_f16 v148, 0x33a8, v129, v162
	v_add_f16_e64 v135, v35, v34
	v_mul_f16_e64 v189, 0xb94e, v136
	v_add_f16_e64 v127, v141, v127
	v_sub_f16_e64 v141, v34, v35
	v_mul_f16_e64 v190, 0xb9fd, v137
	v_add_f16_e64 v128, v148, v128
	v_fma_f16 v148, v135, 0xb9fd, -v189
	v_mul_f16_e64 v179, 0x2fb7, v137
	v_mul_f16_e64 v173, 0x3bf1, v136
	v_fma_f16 v149, 0xb94e, v141, v190
	v_mul_f16_e64 v181, 0xba95, v136
	v_add_f16_e64 v25, v148, v25
	v_fma_f16 v148, 0x3bf1, v141, v179
	v_mul_f16_e64 v166, 0xbbc4, v137
	v_fma_f16 v150, v135, 0x2fb7, -v173
	v_add_f16_e64 v174, v149, v26
	v_fma_f16 v26, v135, 0x388b, -v181
	v_mul_f16_e64 v187, 0x388b, v137
	v_add_f16_e64 v95, v148, v95
	v_mul_f16_e64 v160, 0x33a8, v136
	v_fma_f16 v148, 0x33a8, v141, v166
	v_add_f16_e64 v28, v150, v28
	v_add_f16_e64 v176, v26, v96
	v_fma_f16 v26, 0xba95, v141, v187
	v_mul_f16_e64 v171, 0x3770, v136
	v_fma_f16 v96, v135, 0xbbc4, -v160
	v_mul_f16_e64 v172, 0x3b15, v137
	v_add_f16_e64 v118, v148, v118
	v_sub_f16_e64 v148, v102, v104
	v_add_f16_e64 v150, v104, v102
	v_add_f16_e32 v97, v26, v97
	v_fma_f16 v26, v135, 0x3b15, -v171
	v_add_f16_e32 v117, v96, v117
	v_fma_f16 v96, 0x3770, v141, v172
	v_add_f16_e64 v149, v39, v38
	v_mul_f16_e64 v191, 0xb3a8, v148
	v_sub_f16_e64 v152, v38, v39
	v_mul_f16_e64 v193, 0xbbc4, v150
	v_mul_f16_e64 v184, 0x3770, v148
	;; [unrolled: 1-line block ×3, first 2 shown]
	v_add_f16_e64 v194, v26, v127
	v_add_f16_e64 v195, v96, v128
	v_mul_f16_e64 v186, 0x3b15, v150
	v_fma_f16 v26, v149, 0xbbc4, -v191
	v_fma_f16 v96, 0xb3a8, v152, v193
	v_fma_f16 v127, v149, 0x3b15, -v184
	v_fma_f16 v180, v149, 0xb9fd, -v188
	v_fma_f16 v128, 0x3770, v152, v186
	v_add_f16_e32 v26, v26, v25
	v_add_f16_e64 v96, v96, v174
	v_add_f16_e32 v25, v127, v28
	v_mul_f16_e64 v192, 0xb9fd, v150
	v_add_f16_e64 v28, v180, v176
	v_mul_f16_e64 v174, 0x3a95, v148
	v_mul_f16_e64 v176, 0x388b, v150
	;; [unrolled: 1-line block ×4, first 2 shown]
	v_add_f16_e64 v95, v128, v95
	v_fma_f16 v127, 0xb94e, v152, v192
	v_fma_f16 v128, v149, 0x388b, -v174
	v_fma_f16 v196, 0x3a95, v152, v176
	v_fma_f16 v197, v149, 0xb5ac, -v180
	v_fma_f16 v198, 0xbb7b, v152, v182
	v_add_f16_e32 v97, v127, v97
	v_add_f16_e64 v127, v128, v117
	v_add_f16_e64 v128, v196, v118
	v_add_f16_e64 v117, v197, v194
	v_add_f16_e64 v118, v198, v195
	global_wb scope:SCOPE_SE
	s_barrier_signal -1
	s_barrier_wait -1
	global_inv scope:SCOPE_SE
	s_and_saveexec_b32 s2, vcc_lo
	s_cbranch_execz .LBB0_21
; %bb.20:
	v_add_f16_e32 v32, v32, v31
	s_delay_alu instid0(VALU_DEP_1) | instskip(SKIP_1) | instid1(VALU_DEP_2)
	v_add_f16_e32 v32, v36, v32
	v_mul_f16_e64 v36, 0xb3a8, v154
	v_add_f16_e32 v32, v37, v32
	s_delay_alu instid0(VALU_DEP_2) | instskip(SKIP_1) | instid1(VALU_DEP_3)
	v_fma_f16 v37, v153, 0xbbc4, -v36
	v_fmac_f16_e64 v36, 0xbbc4, v153
	v_add_f16_e32 v32, v33, v32
	v_mul_f16_e64 v33, 0xb5ac, v153
	s_delay_alu instid0(VALU_DEP_4) | instskip(NEXT) | instid1(VALU_DEP_4)
	v_add_f16_e32 v37, v31, v37
	v_add_f16_e32 v36, v31, v36
	s_delay_alu instid0(VALU_DEP_4) | instskip(SKIP_2) | instid1(VALU_DEP_3)
	v_add_f16_e32 v32, v34, v32
	v_mul_f16_e64 v34, 0x2fb7, v153
	v_add_f16_e64 v33, v33, v168
	v_add_f16_e32 v32, v38, v32
	v_mul_f16_e64 v38, 0x3b15, v153
	s_delay_alu instid0(VALU_DEP_4) | instskip(NEXT) | instid1(VALU_DEP_4)
	v_add_f16_e64 v34, v34, v161
	v_add_f16_e32 v33, v31, v33
	s_delay_alu instid0(VALU_DEP_4) | instskip(NEXT) | instid1(VALU_DEP_4)
	v_add_f16_e32 v32, v39, v32
	v_add_f16_e64 v38, v38, v155
	s_delay_alu instid0(VALU_DEP_4) | instskip(SKIP_1) | instid1(VALU_DEP_4)
	v_add_f16_e32 v34, v31, v34
	v_mul_f16_e32 v39, 0x388b, v108
	v_add_f16_e32 v32, v35, v32
	v_mul_f16_e64 v35, 0x388b, v153
	s_delay_alu instid0(VALU_DEP_3) | instskip(NEXT) | instid1(VALU_DEP_3)
	v_add_f16_e64 v39, v39, v163
	v_add_f16_e32 v27, v27, v32
	v_mul_f16_e64 v32, 0xb9fd, v153
	s_delay_alu instid0(VALU_DEP_4) | instskip(NEXT) | instid1(VALU_DEP_3)
	v_add_f16_e64 v35, v35, v158
	v_add_f16_e32 v27, v29, v27
	s_delay_alu instid0(VALU_DEP_3) | instskip(NEXT) | instid1(VALU_DEP_3)
	v_add_f16_e64 v32, v32, v169
	v_add_f16_e32 v35, v31, v35
	v_add_f16_e32 v29, v101, v92
	s_delay_alu instid0(VALU_DEP_4)
	v_add_f16_e32 v27, v30, v27
	v_mul_f16_e32 v30, 0xb770, v107
	v_add_f16_e32 v32, v31, v32
	v_add_f16_e32 v31, v31, v38
	v_mul_f16_e32 v38, 0xba95, v111
	v_add_f16_e32 v29, v100, v29
	v_sub_f16_e64 v30, v147, v30
	v_mul_f16_e32 v100, 0xbbf1, v116
	v_add_f16_e32 v31, v39, v31
	v_sub_f16_e64 v38, v164, v38
	v_add_f16_e32 v29, v103, v29
	v_add_f16_e32 v30, v92, v30
	v_sub_f16_e64 v100, v178, v100
	v_mul_f16_e64 v39, 0xbb7b, v129
	v_add_f16_e32 v27, v89, v27
	v_add_f16_e32 v29, v105, v29
	v_add_f16_e32 v30, v38, v30
	v_mul_f16_e32 v38, 0x2fb7, v113
	v_sub_f16_e64 v39, v185, v39
	v_mul_f16_e32 v89, 0xbbc4, v108
	v_add_f16_e32 v29, v99, v29
	v_add_f16_e32 v30, v100, v30
	v_add_f16_e64 v38, v38, v175
	s_delay_alu instid0(VALU_DEP_4) | instskip(NEXT) | instid1(VALU_DEP_4)
	v_add_f16_e64 v89, v89, v140
	v_add_f16_e32 v29, v102, v29
	s_delay_alu instid0(VALU_DEP_4) | instskip(NEXT) | instid1(VALU_DEP_4)
	v_add_f16_e32 v30, v39, v30
	v_add_f16_e32 v31, v38, v31
	v_mul_f16_e32 v38, 0xb5ac, v122
	v_mul_f16_e64 v39, 0xb94e, v141
	v_add_f16_e32 v29, v104, v29
	v_add_f16_e32 v34, v89, v34
	v_mul_f16_e32 v89, 0xb5ac, v113
	v_add_f16_e64 v38, v38, v183
	v_sub_f16_e64 v39, v190, v39
	v_add_f16_e32 v29, v98, v29
	s_delay_alu instid0(VALU_DEP_4) | instskip(NEXT) | instid1(VALU_DEP_4)
	v_add_f16_e64 v89, v89, v156
	v_add_f16_e32 v31, v38, v31
	v_mul_f16_e64 v38, 0xb9fd, v135
	s_delay_alu instid0(VALU_DEP_4)
	v_add_f16_e32 v29, v94, v29
	v_add_f16_e32 v30, v39, v30
	v_mul_f16_e64 v39, 0xb3a8, v152
	v_add_f16_e32 v34, v89, v34
	v_add_f16_e64 v38, v38, v189
	v_add_f16_e32 v29, v93, v29
	v_mul_f16_e32 v93, 0xb3a8, v111
	v_sub_f16_e64 v39, v193, v39
	v_mul_f16_e32 v89, 0x3b15, v122
	v_add_f16_e32 v31, v38, v31
	v_mul_f16_e32 v38, 0xbbf1, v107
	v_sub_f16_e64 v93, v144, v93
	v_add_f16_e32 v29, v91, v29
	v_mul_f16_e64 v91, 0x3770, v129
	v_add_f16_e32 v30, v39, v30
	v_sub_f16_e64 v38, v132, v38
	v_mul_f16_e64 v39, 0xba95, v141
	v_add_f16_e32 v29, v90, v29
	v_sub_f16_e64 v91, v177, v91
	v_mul_f16_e32 v90, 0xba95, v107
	v_add_f16_e32 v38, v92, v38
	v_sub_f16_e64 v39, v187, v39
	v_add_f16_e64 v89, v89, v170
	v_mul_f16_e64 v94, 0xbbc4, v149
	v_sub_f16_e32 v90, v125, v90
	v_add_f16_e32 v38, v93, v38
	v_mul_f16_e32 v93, 0x3b7b, v116
	v_add_f16_e32 v34, v89, v34
	v_mul_f16_e64 v89, 0x388b, v135
	v_add_f16_e32 v90, v92, v90
	v_add_f16_e64 v94, v94, v191
	v_sub_f16_e64 v93, v165, v93
	v_pack_b32_f16 v27, v27, v29
	v_add_f16_e64 v89, v89, v181
	s_delay_alu instid0(VALU_DEP_4) | instskip(NEXT) | instid1(VALU_DEP_4)
	v_add_f16_e32 v31, v94, v31
	v_add_f16_e32 v38, v93, v38
	v_mul_f16_e32 v93, 0xb5ac, v108
	s_delay_alu instid0(VALU_DEP_4) | instskip(NEXT) | instid1(VALU_DEP_4)
	v_add_f16_e32 v34, v89, v34
	v_pack_b32_f16 v30, v31, v30
	s_delay_alu instid0(VALU_DEP_4) | instskip(SKIP_2) | instid1(VALU_DEP_3)
	v_add_f16_e32 v38, v91, v38
	v_mul_f16_e32 v91, 0xbb7b, v111
	v_add_f16_e64 v93, v93, v133
	v_add_f16_e32 v38, v39, v38
	s_delay_alu instid0(VALU_DEP_3) | instskip(SKIP_1) | instid1(VALU_DEP_4)
	v_sub_f16_e64 v91, v138, v91
	v_mul_f16_e64 v39, 0xb94e, v152
	v_add_f16_e32 v35, v93, v35
	v_mul_f16_e32 v93, 0xbbc4, v113
	s_delay_alu instid0(VALU_DEP_4) | instskip(SKIP_2) | instid1(VALU_DEP_4)
	v_add_f16_e32 v90, v91, v90
	v_mul_f16_e32 v91, 0xb3a8, v116
	v_sub_f16_e64 v39, v192, v39
	v_add_f16_e64 v93, v93, v143
	s_delay_alu instid0(VALU_DEP_3) | instskip(NEXT) | instid1(VALU_DEP_3)
	v_sub_f16_e64 v91, v151, v91
	v_add_f16_e32 v38, v39, v38
	v_mul_f16_e32 v39, 0x2fb7, v108
	s_delay_alu instid0(VALU_DEP_4) | instskip(SKIP_4) | instid1(VALU_DEP_4)
	v_add_f16_e32 v35, v93, v35
	v_mul_f16_e64 v93, 0xb9fd, v149
	v_add_f16_e32 v90, v91, v90
	v_mul_f16_e64 v91, 0x394e, v129
	v_add_f16_e32 v39, v39, v126
	v_add_f16_e64 v93, v93, v188
	s_delay_alu instid0(VALU_DEP_3) | instskip(NEXT) | instid1(VALU_DEP_3)
	v_sub_f16_e64 v91, v167, v91
	v_add_f16_e32 v32, v39, v32
	v_mul_f16_e32 v39, 0x388b, v113
	s_delay_alu instid0(VALU_DEP_4) | instskip(NEXT) | instid1(VALU_DEP_4)
	v_add_f16_e32 v34, v93, v34
	v_add_f16_e32 v89, v91, v90
	v_mul_f16_e64 v90, 0x3bf1, v141
	v_mul_f16_e32 v91, 0xb9fd, v122
	v_add_f16_e64 v39, v39, v139
	v_pack_b32_f16 v34, v34, v38
	v_mul_f16_e32 v38, 0x3bf1, v111
	v_sub_f16_e64 v90, v179, v90
	v_add_f16_e64 v91, v91, v159
	v_add_f16_e32 v32, v39, v32
	v_mul_f16_e32 v39, 0xbbc4, v122
	v_sub_f16_e64 v38, v131, v38
	v_add_f16_e32 v89, v90, v89
	v_mul_f16_e64 v90, 0x2fb7, v135
	v_add_f16_e32 v35, v91, v35
	v_mul_f16_e64 v91, 0x3770, v152
	v_add_f16_e64 v39, v39, v157
	s_delay_alu instid0(VALU_DEP_4) | instskip(NEXT) | instid1(VALU_DEP_3)
	v_add_f16_e64 v90, v90, v173
	v_sub_f16_e64 v91, v186, v91
	s_delay_alu instid0(VALU_DEP_3) | instskip(SKIP_1) | instid1(VALU_DEP_4)
	v_add_f16_e32 v32, v39, v32
	v_mul_f16_e64 v39, 0x3b15, v135
	v_add_f16_e32 v35, v90, v35
	v_mul_f16_e64 v90, 0x3b15, v149
	v_add_f16_e32 v29, v91, v89
	v_mul_f16_e32 v89, 0xbb7b, v107
	v_add_f16_e64 v39, v39, v171
	v_mul_f16_e64 v91, 0xb5ac, v149
	v_add_f16_e64 v90, v90, v184
	s_delay_alu instid0(VALU_DEP_4) | instskip(NEXT) | instid1(VALU_DEP_4)
	v_sub_f16_e32 v89, v112, v89
	v_add_f16_e32 v32, v39, v32
	s_delay_alu instid0(VALU_DEP_4) | instskip(NEXT) | instid1(VALU_DEP_4)
	v_add_f16_e64 v91, v91, v180
	v_add_f16_e32 v31, v90, v35
	v_mul_f16_e32 v35, 0xb94e, v107
	v_mul_f16_e32 v90, 0x394e, v111
	v_add_f16_e32 v39, v92, v89
	v_mul_f16_e32 v89, 0x3770, v116
	v_add_f16_e32 v32, v91, v32
	v_sub_f16_e32 v35, v120, v35
	v_sub_f16_e32 v90, v121, v90
	v_pack_b32_f16 v29, v31, v29
	v_sub_f16_e64 v89, v134, v89
	s_delay_alu instid0(VALU_DEP_4) | instskip(NEXT) | instid1(VALU_DEP_4)
	v_add_f16_e32 v35, v92, v35
	v_add_f16_e32 v39, v90, v39
	v_mul_f16_e32 v90, 0xb9fd, v108
	s_delay_alu instid0(VALU_DEP_3) | instskip(SKIP_1) | instid1(VALU_DEP_3)
	v_add_f16_e32 v35, v38, v35
	v_mul_f16_e32 v38, 0xba95, v116
	v_add_f16_e32 v90, v90, v119
	v_add_f16_e32 v39, v89, v39
	v_mul_f16_e64 v89, 0xbbf1, v129
	s_delay_alu instid0(VALU_DEP_4) | instskip(NEXT) | instid1(VALU_DEP_4)
	v_sub_f16_e64 v38, v146, v38
	v_add_f16_e32 v33, v90, v33
	v_mul_f16_e32 v90, 0x3b15, v113
	s_delay_alu instid0(VALU_DEP_4) | instskip(NEXT) | instid1(VALU_DEP_4)
	v_sub_f16_e64 v89, v145, v89
	v_add_f16_e32 v35, v38, v35
	v_mul_f16_e64 v38, 0x33a8, v129
	s_delay_alu instid0(VALU_DEP_4) | instskip(NEXT) | instid1(VALU_DEP_4)
	v_add_f16_e64 v90, v90, v130
	v_add_f16_e32 v39, v89, v39
	v_mul_f16_e64 v89, 0x33a8, v141
	s_delay_alu instid0(VALU_DEP_4) | instskip(NEXT) | instid1(VALU_DEP_4)
	v_sub_f16_e64 v38, v162, v38
	v_add_f16_e32 v33, v90, v33
	v_mul_f16_e32 v90, 0x2fb7, v122
	s_delay_alu instid0(VALU_DEP_4) | instskip(NEXT) | instid1(VALU_DEP_4)
	v_sub_f16_e64 v89, v166, v89
	v_add_f16_e32 v35, v38, v35
	v_mul_f16_e64 v38, 0x3770, v141
	s_delay_alu instid0(VALU_DEP_4) | instskip(NEXT) | instid1(VALU_DEP_4)
	v_add_f16_e64 v90, v90, v142
	v_add_f16_e32 v39, v89, v39
	v_mul_f16_e64 v89, 0xbbc4, v135
	s_delay_alu instid0(VALU_DEP_4) | instskip(NEXT) | instid1(VALU_DEP_4)
	v_sub_f16_e64 v38, v172, v38
	v_add_f16_e32 v33, v90, v33
	v_mul_f16_e64 v90, 0x3a95, v152
	s_delay_alu instid0(VALU_DEP_4) | instskip(NEXT) | instid1(VALU_DEP_4)
	v_add_f16_e64 v89, v89, v160
	v_add_f16_e32 v35, v38, v35
	v_mul_f16_e64 v38, 0xbb7b, v152
	s_delay_alu instid0(VALU_DEP_4) | instskip(NEXT) | instid1(VALU_DEP_4)
	v_sub_f16_e64 v90, v176, v90
	v_add_f16_e32 v33, v89, v33
	v_mul_f16_e64 v89, 0x388b, v149
	s_delay_alu instid0(VALU_DEP_4) | instskip(NEXT) | instid1(VALU_DEP_2)
	v_sub_f16_e64 v38, v182, v38
	v_add_f16_e64 v89, v89, v174
	s_delay_alu instid0(VALU_DEP_2)
	v_add_f16_e32 v35, v38, v35
	v_add_f16_e32 v38, v90, v39
	v_mul_f16_e32 v39, 0xb3a8, v107
	v_mul_f16_e32 v90, 0x3770, v111
	v_add_f16_e32 v33, v89, v33
	v_pack_b32_f16 v31, v32, v35
	s_delay_alu instid0(VALU_DEP_4) | instskip(NEXT) | instid1(VALU_DEP_4)
	v_fmamk_f16 v91, v106, 0xbbc4, v39
	v_fmamk_f16 v93, v110, 0x3b15, v90
	v_fma_f16 v39, v106, 0xbbc4, -v39
	v_fma_f16 v90, v110, 0x3b15, -v90
	v_pack_b32_f16 v32, v33, v38
	v_add_f16_e32 v91, v92, v91
	s_delay_alu instid0(VALU_DEP_4) | instskip(SKIP_1) | instid1(VALU_DEP_3)
	v_add_f16_e32 v39, v92, v39
	v_mul_f16_e32 v92, 0x3770, v109
	v_add_f16_e32 v91, v93, v91
	v_mul_f16_e32 v93, 0xb94e, v116
	s_delay_alu instid0(VALU_DEP_4) | instskip(NEXT) | instid1(VALU_DEP_2)
	v_add_f16_e32 v39, v90, v39
	v_fmamk_f16 v94, v115, 0xb9fd, v93
	v_fma_f16 v90, v115, 0xb9fd, -v93
	v_mul_f16_e32 v93, 0xb94e, v114
	s_delay_alu instid0(VALU_DEP_3) | instskip(SKIP_1) | instid1(VALU_DEP_4)
	v_add_f16_e32 v91, v94, v91
	v_mul_f16_e64 v94, 0x3a95, v129
	v_add_f16_e32 v39, v90, v39
	s_delay_alu instid0(VALU_DEP_2) | instskip(SKIP_1) | instid1(VALU_DEP_2)
	v_fmamk_f16 v98, v124, 0x388b, v94
	v_fma_f16 v90, v124, 0x388b, -v94
	v_add_f16_e32 v91, v98, v91
	v_mul_f16_e64 v98, 0xbb7b, v141
	s_delay_alu instid0(VALU_DEP_3) | instskip(NEXT) | instid1(VALU_DEP_2)
	v_add_f16_e32 v39, v90, v39
	v_fma_f16 v99, 0xb5ac, v137, v98
	v_fma_f16 v90, v137, 0xb5ac, -v98
	s_delay_alu instid0(VALU_DEP_2) | instskip(SKIP_2) | instid1(VALU_DEP_4)
	v_add_f16_e32 v91, v99, v91
	v_fma_f16 v99, v108, 0x3b15, -v92
	v_fmac_f16_e32 v92, 0x3b15, v108
	v_add_f16_e32 v39, v90, v39
	v_mul_f16_e64 v90, 0x3bf1, v152
	s_delay_alu instid0(VALU_DEP_4) | instskip(SKIP_4) | instid1(VALU_DEP_4)
	v_add_f16_e32 v37, v99, v37
	v_fma_f16 v99, v113, 0xb9fd, -v93
	v_add_f16_e32 v36, v92, v36
	v_fmac_f16_e32 v93, 0xb9fd, v113
	v_mul_f16_e32 v92, 0x3a95, v123
	v_add_f16_e32 v37, v99, v37
	s_delay_alu instid0(VALU_DEP_3) | instskip(NEXT) | instid1(VALU_DEP_3)
	v_add_f16_e32 v36, v93, v36
	v_fma_f16 v94, v122, 0x388b, -v92
	v_fmac_f16_e32 v92, 0x388b, v122
	v_mul_f16_e64 v93, 0xbb7b, v136
	s_delay_alu instid0(VALU_DEP_3) | instskip(NEXT) | instid1(VALU_DEP_3)
	v_add_f16_e32 v37, v94, v37
	v_add_f16_e32 v36, v92, v36
	s_delay_alu instid0(VALU_DEP_3) | instskip(SKIP_3) | instid1(VALU_DEP_4)
	v_fma_f16 v94, v135, 0xb5ac, -v93
	v_fmac_f16_e64 v93, 0xb5ac, v135
	v_fma_f16 v92, 0x2fb7, v150, v90
	v_fma_f16 v90, v150, 0x2fb7, -v90
	v_add_f16_e32 v37, v94, v37
	s_delay_alu instid0(VALU_DEP_4) | instskip(SKIP_1) | instid1(VALU_DEP_4)
	v_add_f16_e32 v36, v93, v36
	v_mul_f16_e64 v93, 0x3bf1, v148
	v_add_f16_e32 v39, v90, v39
	v_add_f16_e32 v89, v92, v91
	s_delay_alu instid0(VALU_DEP_3) | instskip(SKIP_1) | instid1(VALU_DEP_2)
	v_fma_f16 v94, v149, 0x2fb7, -v93
	v_fmac_f16_e64 v93, 0x2fb7, v149
	v_add_f16_e32 v37, v94, v37
	s_delay_alu instid0(VALU_DEP_2) | instskip(NEXT) | instid1(VALU_DEP_2)
	v_add_f16_e32 v36, v93, v36
	v_pack_b32_f16 v33, v37, v89
	s_delay_alu instid0(VALU_DEP_2) | instskip(SKIP_1) | instid1(VALU_DEP_1)
	v_pack_b32_f16 v35, v36, v39
	v_and_b32_e32 v36, 0xffff, v42
	v_lshlrev_b32_e32 v36, 2, v36
	ds_store_2addr_b32 v36, v27, v30 offset1:1
	ds_store_2addr_b32 v36, v29, v34 offset0:2 offset1:3
	ds_store_2addr_b32 v36, v32, v31 offset0:4 offset1:5
	v_perm_b32 v27, v128, v127, 0x5040100
	v_perm_b32 v30, v118, v117, 0x5040100
	;; [unrolled: 1-line block ×5, first 2 shown]
	ds_store_2addr_b32 v36, v35, v33 offset0:6 offset1:7
	ds_store_2addr_b32 v36, v30, v27 offset0:8 offset1:9
	;; [unrolled: 1-line block ×3, first 2 shown]
	ds_store_b32 v36, v31 offset:48
.LBB0_21:
	s_wait_alu 0xfffe
	s_or_b32 exec_lo, exec_lo, s2
	v_add_nc_u32_e32 v27, 0xc00, v40
	v_add_nc_u32_e32 v29, 0x500, v40
	;; [unrolled: 1-line block ×3, first 2 shown]
	global_wb scope:SCOPE_SE
	s_wait_dscnt 0x0
	s_barrier_signal -1
	s_barrier_wait -1
	global_inv scope:SCOPE_SE
	ds_load_2addr_b32 v[31:32], v40 offset1:182
	ds_load_2addr_b32 v[35:36], v27 offset0:51 offset1:233
	ds_load_2addr_b32 v[29:30], v29 offset0:44 offset1:226
	;; [unrolled: 1-line block ×3, first 2 shown]
	s_and_saveexec_b32 s2, s0
	s_cbranch_execz .LBB0_23
; %bb.22:
	ds_load_b32 v117, v40 offset:2912
	ds_load_b32 v127, v40 offset:6188
	s_wait_dscnt 0x1
	v_lshrrev_b32_e32 v118, 16, v117
	s_wait_dscnt 0x0
	v_lshrrev_b32_e32 v128, 16, v127
.LBB0_23:
	s_wait_alu 0xfffe
	s_or_b32 exec_lo, exec_lo, s2
	s_wait_dscnt 0x2
	v_lshrrev_b32_e32 v37, 16, v35
	v_lshrrev_b32_e32 v39, 16, v36
	s_wait_dscnt 0x0
	v_lshrrev_b32_e32 v89, 16, v33
	v_lshrrev_b32_e32 v93, 16, v34
	;; [unrolled: 1-line block ×3, first 2 shown]
	v_mul_f16_e32 v90, v57, v37
	v_mul_f16_e32 v57, v57, v35
	;; [unrolled: 1-line block ×3, first 2 shown]
	v_lshrrev_b32_e32 v38, 16, v32
	v_lshrrev_b32_e32 v42, 16, v29
	v_fmac_f16_e32 v90, v49, v35
	v_fma_f16 v35, v49, v37, -v57
	v_mul_f16_e32 v37, v56, v36
	v_fmac_f16_e32 v92, v47, v36
	v_mul_f16_e32 v36, v55, v89
	v_mul_f16_e32 v49, v55, v33
	;; [unrolled: 1-line block ×3, first 2 shown]
	v_fma_f16 v37, v47, v39, -v37
	v_mul_f16_e32 v39, v54, v34
	v_fmac_f16_e32 v36, v45, v33
	v_fma_f16 v33, v45, v89, -v49
	v_lshrrev_b32_e32 v91, 16, v30
	v_fmac_f16_e32 v55, v44, v34
	v_fma_f16 v39, v44, v93, -v39
	v_mul_f16_e64 v34, v53, v128
	v_mul_f16_e32 v44, v53, v127
	v_sub_f16_e32 v45, v31, v90
	v_sub_f16_e32 v35, v27, v35
	;; [unrolled: 1-line block ×8, first 2 shown]
	v_fmac_f16_e32 v34, v43, v127
	v_fma_f16 v43, v43, v128, -v44
	v_fma_f16 v31, v31, 2.0, -v45
	v_fma_f16 v44, v27, 2.0, -v35
	;; [unrolled: 1-line block ×8, first 2 shown]
	v_sub_f16_e32 v27, v117, v34
	v_sub_f16_e32 v32, v118, v43
	v_pack_b32_f16 v31, v31, v44
	v_pack_b32_f16 v34, v45, v35
	;; [unrolled: 1-line block ×8, first 2 shown]
	global_wb scope:SCOPE_SE
	s_barrier_signal -1
	s_barrier_wait -1
	global_inv scope:SCOPE_SE
	ds_store_2addr_b32 v48, v31, v34 offset1:13
	ds_store_2addr_b32 v50, v35, v37 offset1:13
	;; [unrolled: 1-line block ×4, first 2 shown]
	s_and_saveexec_b32 s2, s0
	s_cbranch_execz .LBB0_25
; %bb.24:
	v_fma_f16 v29, v117, 2.0, -v27
	v_and_b32_e32 v30, 0xffff, v46
	v_fma_f16 v31, v118, 2.0, -v32
	s_delay_alu instid0(VALU_DEP_2) | instskip(NEXT) | instid1(VALU_DEP_2)
	v_lshlrev_b32_e32 v30, 2, v30
	v_pack_b32_f16 v29, v29, v31
	v_perm_b32 v31, v32, v27, 0x5040100
	ds_store_2addr_b32 v30, v29, v31 offset1:13
.LBB0_25:
	s_wait_alu 0xfffe
	s_or_b32 exec_lo, exec_lo, s2
	v_add_nc_u32_e32 v29, 0x500, v40
	v_add_nc_u32_e32 v31, 0x1000, v40
	;; [unrolled: 1-line block ×3, first 2 shown]
	global_wb scope:SCOPE_SE
	s_wait_dscnt 0x0
	s_barrier_signal -1
	s_barrier_wait -1
	global_inv scope:SCOPE_SE
	ds_load_2addr_b32 v[34:35], v40 offset1:182
	ds_load_b32 v42, v40 offset:5824
	ds_load_2addr_b32 v[29:30], v29 offset0:44 offset1:226
	ds_load_2addr_b32 v[36:37], v31 offset0:68 offset1:250
	;; [unrolled: 1-line block ×3, first 2 shown]
	global_wb scope:SCOPE_SE
	s_wait_dscnt 0x0
	s_barrier_signal -1
	s_barrier_wait -1
	global_inv scope:SCOPE_SE
	v_lshrrev_b32_e32 v44, 16, v42
	v_lshrrev_b32_e32 v45, 16, v30
	;; [unrolled: 1-line block ×4, first 2 shown]
	v_mul_f16_e32 v50, v67, v30
	v_mul_f16_e32 v51, v66, v36
	v_lshrrev_b32_e32 v49, 16, v39
	v_mul_f16_e32 v52, v65, v38
	v_mul_f16_e32 v54, v67, v45
	v_fma_f16 v45, v15, v45, -v50
	v_mul_f16_e32 v50, v66, v46
	v_fma_f16 v46, v16, v46, -v51
	v_mul_f16_e32 v51, v65, v47
	v_lshrrev_b32_e32 v48, 16, v37
	v_fma_f16 v47, v13, v47, -v52
	v_mul_f16_e32 v55, v63, v49
	v_fmac_f16_e32 v54, v15, v30
	v_fmac_f16_e32 v50, v16, v36
	;; [unrolled: 1-line block ×3, first 2 shown]
	v_mul_f16_e32 v13, v63, v39
	v_mul_f16_e32 v15, v62, v44
	;; [unrolled: 1-line block ×3, first 2 shown]
	v_lshrrev_b32_e32 v31, 16, v34
	v_mul_f16_e32 v53, v64, v37
	v_mul_f16_e32 v52, v64, v48
	v_fmac_f16_e32 v55, v11, v39
	v_fma_f16 v11, v11, v49, -v13
	v_add_f16_e32 v13, v54, v50
	v_fmac_f16_e32 v15, v12, v42
	v_fma_f16 v12, v12, v44, -v16
	v_add_f16_e32 v16, v45, v46
	;; [unrolled: 3-line block ×3, first 2 shown]
	v_fma_f16 v13, -0.5, v13, v34
	v_sub_f16_e32 v34, v45, v46
	v_add_f16_e32 v36, v31, v45
	v_fmac_f16_e32 v31, -0.5, v16
	v_sub_f16_e32 v16, v54, v50
	v_lshrrev_b32_e32 v43, 16, v35
	v_fmamk_f16 v37, v34, 0xbaee, v13
	v_fmac_f16_e32 v13, 0x3aee, v34
	v_add_f16_e32 v34, v51, v52
	v_fmamk_f16 v38, v16, 0x3aee, v31
	v_fmac_f16_e32 v31, 0xbaee, v16
	v_add_f16_e32 v16, v47, v14
	v_add_f16_e32 v39, v35, v51
	v_fmac_f16_e32 v35, -0.5, v34
	v_sub_f16_e32 v34, v47, v14
	v_add_f16_e32 v42, v43, v47
	v_fmac_f16_e32 v43, -0.5, v16
	v_sub_f16_e32 v16, v51, v52
	v_lshrrev_b32_e32 v33, 16, v29
	v_fmamk_f16 v44, v34, 0xbaee, v35
	v_fmac_f16_e32 v35, 0x3aee, v34
	v_add_f16_e32 v14, v42, v14
	v_add_f16_e32 v34, v55, v15
	v_fmamk_f16 v42, v16, 0x3aee, v43
	v_fmac_f16_e32 v43, 0xbaee, v16
	v_add_f16_e32 v16, v11, v12
	v_add_f16_e32 v30, v30, v50
	;; [unrolled: 1-line block ×4, first 2 shown]
	v_fmac_f16_e32 v29, -0.5, v34
	v_sub_f16_e32 v34, v11, v12
	v_add_f16_e32 v46, v33, v11
	v_fmac_f16_e32 v33, -0.5, v16
	v_sub_f16_e32 v16, v55, v15
	v_add_f16_e32 v39, v39, v52
	v_fmamk_f16 v11, v34, 0xbaee, v29
	v_fmac_f16_e32 v29, 0x3aee, v34
	v_add_f16_e32 v15, v45, v15
	v_fmamk_f16 v34, v16, 0x3aee, v33
	v_fmac_f16_e32 v33, 0xbaee, v16
	v_pack_b32_f16 v16, v30, v36
	v_pack_b32_f16 v30, v37, v38
	v_add_f16_e32 v12, v46, v12
	v_pack_b32_f16 v13, v13, v31
	v_pack_b32_f16 v14, v39, v14
	;; [unrolled: 1-line block ×3, first 2 shown]
	ds_store_2addr_b32 v60, v16, v30 offset1:26
	v_pack_b32_f16 v16, v44, v42
	v_pack_b32_f16 v30, v35, v43
	;; [unrolled: 1-line block ×4, first 2 shown]
	ds_store_b32 v60, v13 offset:208
	ds_store_2addr_b32 v59, v14, v16 offset1:26
	ds_store_b32 v59, v30 offset:208
	ds_store_2addr_b32 v58, v12, v15 offset1:26
	ds_store_b32 v58, v31 offset:208
	v_add_nc_u32_e32 v12, 0x700, v40
	v_add_nc_u32_e32 v15, 0xe80, v40
	global_wb scope:SCOPE_SE
	s_wait_dscnt 0x0
	s_barrier_signal -1
	s_barrier_wait -1
	global_inv scope:SCOPE_SE
	ds_load_2addr_b32 v[13:14], v40 offset1:234
	ds_load_2addr_b32 v[30:31], v12 offset0:20 offset1:254
	ds_load_2addr_b32 v[15:16], v15 offset0:8 offset1:242
	ds_load_b32 v35, v40 offset:5616
	s_and_saveexec_b32 s0, s1
	s_cbranch_execz .LBB0_27
; %bb.26:
	v_add_nc_u32_e32 v11, 0x2c0, v40
	v_add_nc_u32_e32 v25, 0xa00, v40
	;; [unrolled: 1-line block ×3, first 2 shown]
	ds_load_b32 v87, v40 offset:6344
	ds_load_2addr_b32 v[11:12], v11 offset0:6 offset1:240
	ds_load_2addr_b32 v[27:28], v25 offset0:10 offset1:244
	ds_load_2addr_b32 v[25:26], v26 offset0:14 offset1:248
	s_wait_dscnt 0x3
	v_lshrrev_b32_e32 v88, 16, v87
	s_wait_dscnt 0x2
	v_mov_b32_e32 v29, v12
	v_lshrrev_b32_e32 v34, 16, v11
	v_lshrrev_b32_e32 v33, 16, v12
	s_wait_dscnt 0x1
	v_lshrrev_b32_e32 v32, 16, v27
	v_lshrrev_b32_e32 v97, 16, v28
	s_wait_dscnt 0x0
	v_lshrrev_b32_e32 v95, 16, v25
	v_lshrrev_b32_e32 v96, 16, v26
.LBB0_27:
	s_wait_alu 0xfffe
	s_or_b32 exec_lo, exec_lo, s0
	s_wait_dscnt 0x3
	v_lshrrev_b32_e32 v12, 16, v14
	s_wait_dscnt 0x2
	v_lshrrev_b32_e32 v37, 16, v30
	v_lshrrev_b32_e32 v38, 16, v31
	v_mul_f16_e32 v39, v86, v14
	s_wait_dscnt 0x1
	v_lshrrev_b32_e32 v43, 16, v15
	v_mul_f16_e32 v42, v86, v12
	v_lshrrev_b32_e32 v44, 16, v16
	s_wait_dscnt 0x0
	v_lshrrev_b32_e32 v45, 16, v35
	v_fma_f16 v12, v4, v12, -v39
	v_mul_f16_e32 v39, v84, v38
	v_fmac_f16_e32 v42, v4, v14
	v_mul_f16_e32 v4, v85, v37
	v_mul_f16_e32 v14, v85, v30
	;; [unrolled: 1-line block ×4, first 2 shown]
	v_fmac_f16_e32 v39, v6, v31
	v_fmac_f16_e32 v4, v5, v30
	v_fma_f16 v5, v5, v37, -v14
	v_fmac_f16_e32 v47, v7, v15
	v_mul_f16_e32 v14, v83, v45
	v_mul_f16_e32 v30, v83, v35
	;; [unrolled: 1-line block ×5, first 2 shown]
	v_fmac_f16_e32 v14, v18, v35
	v_fma_f16 v18, v18, v45, -v30
	v_fma_f16 v7, v7, v43, -v15
	v_fmac_f16_e32 v31, v17, v16
	v_fma_f16 v15, v17, v44, -v37
	v_fma_f16 v6, v6, v38, -v46
	v_add_f16_e32 v16, v42, v14
	v_add_f16_e32 v17, v12, v18
	v_sub_f16_e32 v12, v12, v18
	v_add_f16_e32 v18, v4, v31
	v_add_f16_e32 v30, v5, v15
	v_sub_f16_e32 v4, v4, v31
	v_sub_f16_e32 v5, v5, v15
	v_add_f16_e32 v15, v39, v47
	v_add_f16_e32 v31, v6, v7
	v_sub_f16_e32 v35, v47, v39
	;; [unrolled: 4-line block ×3, first 2 shown]
	v_lshrrev_b32_e32 v36, 16, v13
	v_sub_f16_e32 v38, v18, v16
	v_sub_f16_e32 v39, v30, v17
	;; [unrolled: 1-line block ×6, first 2 shown]
	v_add_f16_e32 v42, v35, v4
	v_add_f16_e32 v43, v6, v5
	v_sub_f16_e32 v44, v35, v4
	v_sub_f16_e32 v45, v6, v5
	v_add_f16_e32 v7, v15, v7
	v_add_f16_e32 v15, v31, v37
	v_sub_f16_e32 v4, v4, v14
	v_sub_f16_e32 v5, v5, v12
	;; [unrolled: 1-line block ×4, first 2 shown]
	v_add_f16_e32 v14, v42, v14
	v_add_f16_e32 v12, v43, v12
	;; [unrolled: 1-line block ×4, first 2 shown]
	v_mul_f16_e32 v16, 0x3a52, v16
	v_mul_f16_e32 v17, 0x3a52, v17
	;; [unrolled: 1-line block ×8, first 2 shown]
	v_fmamk_f16 v7, v7, 0xbcab, v13
	v_fmamk_f16 v15, v15, 0xbcab, v31
	;; [unrolled: 1-line block ×4, first 2 shown]
	v_fma_f16 v36, v38, 0x39e0, -v36
	v_fma_f16 v37, v39, 0x39e0, -v37
	;; [unrolled: 1-line block ×4, first 2 shown]
	v_fmamk_f16 v38, v35, 0xb574, v42
	v_fmamk_f16 v39, v6, 0xb574, v43
	v_fma_f16 v4, v4, 0xbb00, -v42
	v_fma_f16 v5, v5, 0xbb00, -v43
	;; [unrolled: 1-line block ×4, first 2 shown]
	v_add_f16_e32 v18, v18, v7
	v_add_f16_e32 v30, v30, v15
	v_fmac_f16_e32 v38, 0xb70e, v14
	v_fmac_f16_e32 v39, 0xb70e, v12
	v_add_f16_e32 v36, v36, v7
	v_add_f16_e32 v37, v37, v15
	;; [unrolled: 1-line block ×4, first 2 shown]
	v_fmac_f16_e32 v4, 0xb70e, v14
	v_fmac_f16_e32 v6, 0xb70e, v12
	;; [unrolled: 1-line block ×4, first 2 shown]
	v_add_f16_e32 v12, v39, v18
	v_sub_f16_e32 v14, v30, v38
	v_add_f16_e32 v16, v6, v7
	v_sub_f16_e32 v17, v15, v35
	v_sub_f16_e32 v42, v36, v5
	v_add_f16_e32 v43, v4, v37
	v_add_f16_e32 v5, v5, v36
	v_sub_f16_e32 v4, v37, v4
	v_sub_f16_e32 v6, v7, v6
	v_add_f16_e32 v7, v35, v15
	v_sub_f16_e32 v15, v18, v39
	v_add_f16_e32 v18, v38, v30
	v_pack_b32_f16 v13, v13, v31
	v_pack_b32_f16 v12, v12, v14
	;; [unrolled: 1-line block ×6, first 2 shown]
	v_add_nc_u32_e32 v6, 0x400, v74
	v_pack_b32_f16 v7, v15, v18
	global_wb scope:SCOPE_SE
	s_barrier_signal -1
	s_barrier_wait -1
	global_inv scope:SCOPE_SE
	ds_store_2addr_b32 v74, v13, v12 offset1:78
	ds_store_2addr_b32 v74, v14, v16 offset0:156 offset1:234
	ds_store_2addr_b32 v6, v4, v5 offset0:56 offset1:134
	ds_store_b32 v74, v7 offset:1872
	s_and_saveexec_b32 s0, s1
	s_cbranch_execz .LBB0_29
; %bb.28:
	v_mul_f16_e32 v4, v72, v33
	v_mul_f16_e32 v7, v70, v32
	;; [unrolled: 1-line block ×6, first 2 shown]
	v_fmac_f16_e32 v7, v1, v27
	v_fmac_f16_e32 v12, v9, v26
	;; [unrolled: 1-line block ×3, first 2 shown]
	v_mul_f16_e32 v16, v73, v87
	v_mul_f16_e32 v29, v72, v29
	;; [unrolled: 1-line block ×4, first 2 shown]
	v_fmac_f16_e32 v5, v3, v25
	v_fmac_f16_e32 v6, v2, v28
	;; [unrolled: 1-line block ×3, first 2 shown]
	v_fma_f16 v10, v10, v88, -v16
	v_fma_f16 v0, v0, v33, -v29
	v_mul_f16_e32 v28, v68, v28
	v_mul_f16_e32 v25, v69, v25
	v_fma_f16 v9, v9, v96, -v26
	v_fma_f16 v1, v1, v32, -v27
	v_add_f16_e32 v26, v10, v0
	v_fma_f16 v2, v2, v97, -v28
	v_fma_f16 v3, v3, v95, -v25
	v_sub_f16_e32 v15, v7, v12
	v_add_f16_e32 v25, v9, v1
	v_sub_f16_e32 v17, v4, v13
	v_add_f16_e32 v4, v13, v4
	v_add_f16_e32 v28, v2, v3
	;; [unrolled: 1-line block ×4, first 2 shown]
	v_sub_f16_e32 v14, v5, v6
	v_add_f16_e32 v5, v6, v5
	v_sub_f16_e32 v30, v26, v28
	v_sub_f16_e32 v12, v28, v25
	v_add_f16_e32 v29, v28, v29
	v_add_f16_e32 v28, v7, v4
	v_sub_f16_e32 v2, v3, v2
	v_sub_f16_e32 v1, v1, v9
	v_mul_f16_e32 v13, 0x3a52, v30
	v_add_f16_e32 v6, v34, v29
	v_sub_f16_e32 v31, v4, v5
	v_sub_f16_e32 v0, v0, v10
	;; [unrolled: 1-line block ×4, first 2 shown]
	v_add_f16_e32 v14, v14, v15
	v_add_f16_e32 v28, v5, v28
	v_sub_f16_e32 v10, v2, v1
	v_sub_f16_e32 v15, v15, v17
	v_mul_f16_e32 v30, 0x2b26, v12
	v_fmamk_f16 v12, v12, 0x2b26, v13
	v_fmamk_f16 v29, v29, 0xbcab, v6
	v_mul_f16_e32 v3, 0x3a52, v31
	v_sub_f16_e32 v5, v5, v7
	v_sub_f16_e32 v31, v0, v2
	v_add_f16_e32 v2, v2, v1
	v_sub_f16_e32 v25, v25, v26
	v_sub_f16_e32 v1, v1, v0
	v_mul_f16_e32 v18, 0x3846, v18
	v_add_f16_e32 v9, v11, v28
	v_mul_f16_e32 v10, 0x3846, v10
	v_mul_f16_e32 v33, 0xbb00, v15
	v_add_f16_e32 v11, v12, v29
	v_fmamk_f16 v12, v5, 0x2b26, v3
	v_mul_f16_e32 v5, 0x2b26, v5
	v_sub_f16_e32 v4, v7, v4
	v_fma_f16 v7, v25, 0xb9e0, -v13
	v_mul_f16_e32 v13, 0xbb00, v1
	v_fmamk_f16 v27, v16, 0xb574, v18
	v_add_f16_e32 v14, v14, v17
	v_fmamk_f16 v28, v28, 0xbcab, v9
	v_fmamk_f16 v17, v31, 0xb574, v10
	v_add_f16_e32 v0, v2, v0
	v_fma_f16 v2, v16, 0x3574, -v33
	v_fma_f16 v3, v4, 0xb9e0, -v3
	;; [unrolled: 1-line block ×7, first 2 shown]
	v_fmac_f16_e32 v27, 0xb70e, v14
	v_add_f16_e32 v12, v12, v28
	v_fmac_f16_e32 v17, 0xb70e, v0
	v_fmac_f16_e32 v2, 0xb70e, v14
	v_add_f16_e32 v7, v7, v29
	v_add_f16_e32 v3, v3, v28
	v_fmac_f16_e32 v13, 0xb70e, v0
	v_add_f16_e32 v5, v16, v29
	v_fmac_f16_e32 v15, 0xb70e, v14
	v_fmac_f16_e32 v1, 0xb70e, v0
	v_add_f16_e32 v0, v4, v28
	v_add_f16_e32 v32, v27, v11
	v_sub_f16_e32 v4, v12, v17
	v_add_f16_e32 v10, v2, v7
	v_sub_f16_e32 v2, v7, v2
	v_sub_f16_e32 v7, v11, v27
	v_add_f16_e32 v11, v17, v12
	v_lshlrev_b32_e32 v12, 2, v61
	v_sub_f16_e32 v14, v3, v13
	v_sub_f16_e32 v16, v5, v15
	v_add_f16_e32 v18, v1, v0
	v_add_f16_e32 v5, v15, v5
	;; [unrolled: 1-line block ×3, first 2 shown]
	v_sub_f16_e32 v0, v0, v1
	v_pack_b32_f16 v1, v9, v6
	v_pack_b32_f16 v6, v11, v7
	v_add_nc_u32_e32 v7, 0x1000, v12
	v_pack_b32_f16 v2, v3, v2
	v_pack_b32_f16 v0, v0, v5
	v_add_nc_u32_e32 v3, 0x1200, v12
	v_pack_b32_f16 v5, v18, v16
	v_pack_b32_f16 v9, v14, v10
	v_add_nc_u32_e32 v10, 0x1400, v12
	v_pack_b32_f16 v4, v4, v32
	ds_store_2addr_b32 v7, v1, v6 offset0:68 offset1:146
	ds_store_2addr_b32 v3, v2, v0 offset0:96 offset1:174
	;; [unrolled: 1-line block ×3, first 2 shown]
	ds_store_b32 v12, v4 offset:6240
.LBB0_29:
	s_wait_alu 0xfffe
	s_or_b32 exec_lo, exec_lo, s0
	v_add_nc_u32_e32 v7, 0x500, v40
	v_add_nc_u32_e32 v4, 0x1000, v40
	;; [unrolled: 1-line block ×3, first 2 shown]
	global_wb scope:SCOPE_SE
	s_wait_dscnt 0x0
	s_barrier_signal -1
	s_barrier_wait -1
	global_inv scope:SCOPE_SE
	ds_load_2addr_b32 v[0:1], v40 offset1:182
	ds_load_b32 v12, v40 offset:5824
	ds_load_2addr_b32 v[2:3], v7 offset0:44 offset1:226
	ds_load_2addr_b32 v[5:6], v4 offset0:68 offset1:250
	;; [unrolled: 1-line block ×3, first 2 shown]
	s_wait_dscnt 0x3
	v_lshrrev_b32_e32 v15, 16, v12
	s_wait_dscnt 0x2
	v_lshrrev_b32_e32 v16, 16, v3
	;; [unrolled: 2-line block ×3, first 2 shown]
	v_mul_f16_e32 v28, v77, v3
	s_wait_dscnt 0x0
	v_lshrrev_b32_e32 v18, 16, v9
	v_mul_f16_e32 v29, v78, v5
	v_lshrrev_b32_e32 v25, 16, v6
	v_lshrrev_b32_e32 v27, 16, v10
	v_mul_f16_e32 v30, v80, v9
	v_mul_f16_e32 v32, v77, v16
	v_fma_f16 v16, v19, v16, -v28
	v_mul_f16_e32 v28, v78, v17
	v_fma_f16 v17, v20, v17, -v29
	;; [unrolled: 2-line block ×3, first 2 shown]
	v_mul_f16_e32 v30, v79, v25
	v_mul_f16_e32 v33, v76, v27
	v_fmac_f16_e32 v32, v19, v3
	v_fmac_f16_e32 v28, v20, v5
	;; [unrolled: 1-line block ×3, first 2 shown]
	v_mul_f16_e32 v9, v75, v12
	v_lshrrev_b32_e32 v13, 16, v0
	v_mul_f16_e32 v31, v79, v6
	v_fmac_f16_e32 v30, v24, v6
	v_mul_f16_e32 v3, v76, v10
	v_mul_f16_e32 v6, v75, v15
	v_fmac_f16_e32 v33, v21, v10
	v_add_f16_e32 v10, v32, v28
	v_fma_f16 v9, v22, v15, -v9
	v_add_f16_e32 v15, v16, v17
	v_fmac_f16_e32 v6, v22, v12
	v_add_f16_e32 v12, v0, v32
	v_fma_f16 v0, -0.5, v10, v0
	v_sub_f16_e32 v10, v16, v17
	v_add_f16_e32 v16, v13, v16
	v_fma_f16 v5, v24, v25, -v31
	v_fmac_f16_e32 v13, -0.5, v15
	v_sub_f16_e32 v15, v32, v28
	v_fmamk_f16 v19, v10, 0xbaee, v0
	v_fmac_f16_e32 v0, 0x3aee, v10
	v_add_f16_e32 v10, v16, v17
	v_add_f16_e32 v16, v29, v30
	v_lshrrev_b32_e32 v14, 16, v1
	v_fmamk_f16 v17, v15, 0x3aee, v13
	v_fmac_f16_e32 v13, 0xbaee, v15
	v_add_f16_e32 v15, v18, v5
	v_add_f16_e32 v20, v1, v29
	v_fmac_f16_e32 v1, -0.5, v16
	v_sub_f16_e32 v16, v18, v5
	v_fma_f16 v3, v21, v27, -v3
	v_add_f16_e32 v18, v14, v18
	v_fmac_f16_e32 v14, -0.5, v15
	v_sub_f16_e32 v15, v29, v30
	v_lshrrev_b32_e32 v26, 16, v2
	v_fmamk_f16 v21, v16, 0xbaee, v1
	v_fmac_f16_e32 v1, 0x3aee, v16
	v_add_f16_e32 v16, v33, v6
	v_add_f16_e32 v5, v18, v5
	v_fmamk_f16 v18, v15, 0x3aee, v14
	v_fmac_f16_e32 v14, 0xbaee, v15
	v_add_f16_e32 v15, v3, v9
	v_add_f16_e32 v22, v2, v33
	v_fmac_f16_e32 v2, -0.5, v16
	v_sub_f16_e32 v16, v3, v9
	v_add_f16_e32 v3, v26, v3
	v_fmac_f16_e32 v26, -0.5, v15
	v_sub_f16_e32 v15, v33, v6
	v_add_f16_e32 v12, v12, v28
	v_add_f16_e32 v20, v20, v30
	;; [unrolled: 1-line block ×4, first 2 shown]
	v_fmamk_f16 v22, v16, 0xbaee, v2
	v_fmamk_f16 v9, v15, 0x3aee, v26
	v_fmac_f16_e32 v2, 0x3aee, v16
	v_fmac_f16_e32 v26, 0xbaee, v15
	v_pack_b32_f16 v10, v12, v10
	v_pack_b32_f16 v5, v20, v5
	;; [unrolled: 1-line block ×9, first 2 shown]
	ds_store_2addr_b32 v40, v10, v5 offset1:182
	ds_store_2addr_b32 v4, v0, v1 offset0:68 offset1:250
	ds_store_2addr_b32 v7, v3, v12 offset0:44 offset1:226
	;; [unrolled: 1-line block ×3, first 2 shown]
	ds_store_b32 v40, v2 offset:5824
	global_wb scope:SCOPE_SE
	s_wait_dscnt 0x0
	s_barrier_signal -1
	s_barrier_wait -1
	global_inv scope:SCOPE_SE
	s_and_b32 exec_lo, exec_lo, vcc_lo
	s_cbranch_execz .LBB0_31
; %bb.30:
	s_clause 0x6
	global_load_b32 v0, v40, s[20:21]
	global_load_b32 v1, v40, s[20:21] offset:504
	global_load_b32 v2, v40, s[20:21] offset:1008
	;; [unrolled: 1-line block ×6, first 2 shown]
	v_mad_co_u64_u32 v[10:11], null, s6, v8, 0
	v_mad_co_u64_u32 v[14:15], null, s4, v41, 0
	ds_load_b32 v23, v40
	v_add_nc_u32_e32 v5, 0x400, v40
	v_add_nc_u32_e32 v6, 0x800, v40
	ds_load_2addr_b32 v[12:13], v40 offset0:126 offset1:252
	ds_load_2addr_b32 v[16:17], v5 offset0:122 offset1:248
	ds_load_2addr_b32 v[18:19], v6 offset0:118 offset1:244
	v_dual_mov_b32 v5, v11 :: v_dual_mov_b32 v6, v15
	s_mov_b32 s24, 0x14014014
	s_mov_b32 s25, 0x3f440140
	s_mul_u64 s[22:23], s[4:5], 0x1f8
	s_delay_alu instid0(VALU_DEP_1)
	v_mad_co_u64_u32 v[20:21], null, s7, v8, v[5:6]
	v_mad_co_u64_u32 v[21:22], null, s5, v41, v[6:7]
	s_clause 0x3
	global_load_b32 v8, v40, s[20:21] offset:3528
	global_load_b32 v6, v40, s[20:21] offset:4032
	;; [unrolled: 1-line block ×4, first 2 shown]
	s_wait_dscnt 0x3
	v_lshrrev_b32_e32 v22, 16, v23
	v_mov_b32_e32 v11, v20
	s_wait_dscnt 0x2
	v_lshrrev_b32_e32 v24, 16, v12
	v_mov_b32_e32 v15, v21
	v_lshrrev_b32_e32 v25, 16, v13
	s_wait_dscnt 0x1
	v_lshrrev_b32_e32 v27, 16, v16
	v_lshrrev_b32_e32 v28, 16, v17
	s_wait_dscnt 0x0
	v_lshrrev_b32_e32 v29, 16, v18
	v_lshrrev_b32_e32 v41, 16, v19
	s_wait_loadcnt 0xa
	v_lshrrev_b32_e32 v20, 16, v0
	s_wait_loadcnt 0x9
	;; [unrolled: 2-line block ×5, first 2 shown]
	v_lshrrev_b32_e32 v32, 16, v9
	v_mul_f16_e32 v34, v22, v20
	v_mul_f16_e32 v20, v23, v20
	v_mul_f16_e32 v35, v24, v21
	v_mul_f16_e32 v21, v12, v21
	v_mul_f16_e32 v36, v25, v30
	v_fmac_f16_e32 v34, v23, v0
	v_fma_f16 v0, v0, v22, -v20
	v_fmac_f16_e32 v35, v12, v1
	v_fma_f16 v22, v1, v24, -v21
	v_mul_f16_e32 v23, v13, v30
	v_cvt_f32_f16_e32 v20, v34
	v_cvt_f32_f16_e32 v12, v0
	;; [unrolled: 1-line block ×3, first 2 shown]
	v_fmac_f16_e32 v36, v13, v2
	v_cvt_f32_f16_e32 v22, v22
	v_cvt_f64_f32_e32 v[0:1], v20
	v_cvt_f64_f32_e32 v[20:21], v12
	v_cvt_f64_f32_e32 v[12:13], v24
	v_mul_f16_e32 v30, v27, v31
	v_cvt_f32_f16_e32 v24, v36
	v_fma_f16 v2, v2, v25, -v23
	v_cvt_f64_f32_e32 v[22:23], v22
	v_mul_f16_e32 v31, v16, v31
	v_fmac_f16_e32 v30, v16, v3
	v_cvt_f64_f32_e32 v[24:25], v24
	v_cvt_f32_f16_e32 v2, v2
	s_wait_loadcnt 0x5
	v_lshrrev_b32_e32 v33, 16, v26
	v_mul_f16_e32 v34, v28, v32
	v_cvt_f32_f16_e32 v16, v30
	v_fma_f16 v27, v3, v27, -v31
	v_cvt_f64_f32_e32 v[2:3], v2
	v_mul_f16_e32 v32, v17, v32
	v_mul_f16_e32 v35, v29, v33
	;; [unrolled: 1-line block ×3, first 2 shown]
	v_fmac_f16_e32 v34, v17, v9
	v_cvt_f64_f32_e32 v[16:17], v16
	v_cvt_f32_f16_e32 v27, v27
	v_fma_f16 v9, v9, v28, -v32
	v_fmac_f16_e32 v35, v18, v26
	v_fma_f16 v18, v26, v29, -v33
	v_cvt_f32_f16_e32 v28, v34
	v_cvt_f64_f32_e32 v[26:27], v27
	v_cvt_f32_f16_e32 v30, v9
	v_lshlrev_b64_e32 v[9:10], 2, v[10:11]
	v_cvt_f32_f16_e32 v18, v18
	v_cvt_f64_f32_e32 v[28:29], v28
	v_cvt_f32_f16_e32 v32, v35
	v_cvt_f64_f32_e32 v[30:31], v30
	s_wait_loadcnt 0x4
	v_lshrrev_b32_e32 v43, 16, v42
	v_add_co_u32 v11, vcc_lo, s8, v9
	v_cvt_f64_f32_e32 v[34:35], v18
	v_add_co_ci_u32_e32 v18, vcc_lo, s9, v10, vcc_lo
	v_mul_f64_e32 v[38:39], s[24:25], v[0:1]
	v_lshlrev_b64_e32 v[0:1], 2, v[14:15]
	v_mul_f64_e32 v[14:15], s[24:25], v[20:21]
	v_mul_f64_e32 v[9:10], s[24:25], v[12:13]
	v_cvt_f64_f32_e32 v[32:33], v32
	v_mul_f16_e32 v36, v41, v43
	v_mul_f64_e32 v[20:21], s[24:25], v[22:23]
	v_add_co_u32 v11, vcc_lo, v11, v0
	s_wait_alu 0xfffd
	v_add_co_ci_u32_e32 v12, vcc_lo, v18, v1, vcc_lo
	v_fmac_f16_e32 v36, v19, v42
	v_mul_f16_e32 v0, v19, v43
	v_mul_f64_e32 v[18:19], s[24:25], v[24:25]
	v_mul_f64_e32 v[24:25], s[24:25], v[2:3]
	v_add_co_u32 v22, vcc_lo, v11, s22
	s_wait_alu 0xfffd
	v_add_co_ci_u32_e32 v23, vcc_lo, s23, v12, vcc_lo
	v_mul_f64_e32 v[16:17], s[24:25], v[16:17]
	v_fma_f16 v0, v42, v41, -v0
	v_add_co_u32 v41, vcc_lo, v22, s22
	s_wait_alu 0xfffd
	v_add_co_ci_u32_e32 v42, vcc_lo, s23, v23, vcc_lo
	v_mul_f64_e32 v[26:27], s[24:25], v[26:27]
	s_delay_alu instid0(VALU_DEP_3) | instskip(SKIP_1) | instid1(VALU_DEP_3)
	v_add_co_u32 v43, vcc_lo, v41, s22
	s_wait_alu 0xfffd
	v_add_co_ci_u32_e32 v44, vcc_lo, s23, v42, vcc_lo
	v_mul_f64_e32 v[28:29], s[24:25], v[28:29]
	v_mul_f64_e32 v[30:31], s[24:25], v[30:31]
	v_cvt_f32_f16_e32 v36, v36
	v_cvt_f32_f16_e32 v0, v0
	v_mul_f64_e32 v[2:3], s[24:25], v[34:35]
	s_delay_alu instid0(VALU_DEP_3)
	v_cvt_f64_f32_e32 v[36:37], v36
	v_and_or_b32 v13, 0x1ff, v39, v38
	v_lshrrev_b32_e32 v34, 8, v39
	v_and_or_b32 v14, 0x1ff, v15, v14
	v_and_or_b32 v9, 0x1ff, v10, v9
	v_mul_f64_e32 v[32:33], s[24:25], v[32:33]
	v_cmp_ne_u32_e32 vcc_lo, 0, v13
	v_and_or_b32 v20, 0x1ff, v21, v20
	v_cvt_f64_f32_e32 v[45:46], v0
	v_bfe_u32 v35, v39, 20, 11
	v_bfe_u32 v38, v15, 20, 11
	s_wait_alu 0xfffd
	v_cndmask_b32_e64 v13, 0, 1, vcc_lo
	v_cmp_ne_u32_e32 vcc_lo, 0, v14
	v_bfe_u32 v47, v10, 20, 11
	v_and_or_b32 v18, 0x1ff, v19, v18
	v_and_or_b32 v24, 0x1ff, v25, v24
	;; [unrolled: 1-line block ×3, first 2 shown]
	s_wait_alu 0xfffd
	v_cndmask_b32_e64 v14, 0, 1, vcc_lo
	v_cmp_ne_u32_e32 vcc_lo, 0, v9
	v_bfe_u32 v49, v21, 20, 11
	v_and_or_b32 v16, 0x1ff, v17, v16
	v_sub_nc_u32_e32 v64, 0x3f1, v35
	v_add_nc_u32_e32 v35, 0xfffffc10, v35
	s_wait_alu 0xfffd
	v_cndmask_b32_e64 v9, 0, 1, vcc_lo
	v_cmp_ne_u32_e32 vcc_lo, 0, v20
	v_sub_nc_u32_e32 v65, 0x3f1, v38
	v_and_or_b32 v26, 0x1ff, v27, v26
	v_lshrrev_b32_e32 v48, 8, v21
	v_add_nc_u32_e32 v38, 0xfffffc10, v38
	s_wait_alu 0xfffd
	v_cndmask_b32_e64 v20, 0, 1, vcc_lo
	v_cmp_ne_u32_e32 vcc_lo, 0, v18
	v_and_or_b32 v28, 0x1ff, v29, v28
	v_and_or_b32 v30, 0x1ff, v31, v30
	v_sub_nc_u32_e32 v66, 0x3f1, v47
	v_sub_nc_u32_e32 v67, 0x3f1, v49
	s_wait_alu 0xfffd
	v_cndmask_b32_e64 v18, 0, 1, vcc_lo
	v_cmp_ne_u32_e32 vcc_lo, 0, v24
	v_med3_i32 v34, v64, 0, 13
	v_mul_f64_e32 v[0:1], s[24:25], v[36:37]
	v_lshrrev_b32_e32 v37, 8, v15
	v_lshrrev_b32_e32 v36, 16, v39
	s_wait_alu 0xfffd
	v_cndmask_b32_e64 v24, 0, 1, vcc_lo
	v_cmp_ne_u32_e32 vcc_lo, 0, v16
	v_and_or_b32 v32, 0x1ff, v33, v32
	v_and_or_b32 v14, 0xffe, v37, v14
	v_lshrrev_b32_e32 v39, 8, v10
	v_med3_i32 v37, v65, 0, 13
	s_wait_alu 0xfffd
	v_cndmask_b32_e64 v16, 0, 1, vcc_lo
	v_cmp_ne_u32_e32 vcc_lo, 0, v26
	v_or_b32_e32 v64, 0x1000, v13
	v_lshl_or_b32 v65, v35, 12, v13
	v_lshrrev_b32_e32 v60, 8, v31
	v_bfe_u32 v61, v31, 20, 11
	s_wait_alu 0xfffd
	v_cndmask_b32_e64 v26, 0, 1, vcc_lo
	v_cmp_ne_u32_e32 vcc_lo, 0, v28
	v_and_or_b32 v9, 0xffe, v39, v9
	v_med3_i32 v39, v66, 0, 13
	v_and_or_b32 v20, 0xffe, v48, v20
	v_med3_i32 v48, v67, 0, 13
	s_wait_alu 0xfffd
	v_cndmask_b32_e64 v28, 0, 1, vcc_lo
	v_cmp_ne_u32_e32 vcc_lo, 0, v30
	v_or_b32_e32 v66, 0x1000, v14
	v_lshl_or_b32 v67, v38, 12, v14
	v_lshrrev_b32_e32 v58, 8, v29
	v_bfe_u32 v59, v29, 20, 11
	s_wait_alu 0xfffd
	v_cndmask_b32_e64 v30, 0, 1, vcc_lo
	v_cmp_ne_u32_e32 vcc_lo, 0, v32
	v_sub_nc_u32_e32 v73, 0x3f1, v61
	v_lshrrev_b32_e32 v56, 8, v27
	v_bfe_u32 v57, v27, 20, 11
	v_and_or_b32 v30, 0xffe, v60, v30
	s_wait_alu 0xfffd
	v_cndmask_b32_e64 v32, 0, 1, vcc_lo
	v_cmp_ne_u32_e32 vcc_lo, 0, v13
	v_sub_nc_u32_e32 v72, 0x3f1, v59
	v_and_or_b32 v28, 0xffe, v58, v28
	v_lshrrev_b32_e32 v54, 8, v17
	v_bfe_u32 v55, v17, 20, 11
	s_wait_alu 0xfffd
	v_cndmask_b32_e64 v13, 0, 1, vcc_lo
	v_cmp_ne_u32_e32 vcc_lo, 0, v14
	v_sub_nc_u32_e32 v71, 0x3f1, v57
	v_and_or_b32 v26, 0xffe, v56, v26
	v_lshrrev_b32_e32 v52, 8, v25
	v_bfe_u32 v53, v25, 20, 11
	s_wait_alu 0xfffd
	v_cndmask_b32_e64 v14, 0, 1, vcc_lo
	v_sub_nc_u32_e32 v70, 0x3f1, v55
	v_and_or_b32 v16, 0xffe, v54, v16
	v_lshrrev_b32_e32 v50, 8, v19
	v_bfe_u32 v51, v19, 20, 11
	v_lshl_or_b32 v14, v14, 9, 0x7c00
	v_add_nc_u32_e32 v61, 0xfffffc10, v61
	v_sub_nc_u32_e32 v69, 0x3f1, v53
	v_and_or_b32 v24, 0xffe, v52, v24
	v_sub_nc_u32_e32 v68, 0x3f1, v51
	v_and_or_b32 v18, 0xffe, v50, v18
	v_lshl_or_b32 v83, v61, 12, v30
	v_add_nc_u32_e32 v59, 0xfffffc10, v59
	v_med3_i32 v60, v73, 0, 13
	v_med3_i32 v56, v71, 0, 13
	v_cmp_ne_u32_e32 vcc_lo, 0, v9
	v_med3_i32 v50, v68, 0, 13
	v_lshl_or_b32 v81, v59, 12, v28
	v_add_nc_u32_e32 v57, 0xfffffc10, v57
	v_med3_i32 v52, v69, 0, 13
	v_or_b32_e32 v68, 0x1000, v9
	v_bfe_u32 v63, v33, 20, 11
	v_med3_i32 v54, v70, 0, 13
	v_lshl_or_b32 v79, v57, 12, v26
	v_add_nc_u32_e32 v55, 0xfffffc10, v55
	v_or_b32_e32 v70, 0x1000, v20
	v_lshrrev_b32_e32 v62, 8, v33
	v_sub_nc_u32_e32 v74, 0x3f1, v63
	v_med3_i32 v58, v72, 0, 13
	v_lshl_or_b32 v77, v55, 12, v16
	v_add_nc_u32_e32 v53, 0xfffffc10, v53
	v_or_b32_e32 v72, 0x1000, v18
	v_and_or_b32 v32, 0xffe, v62, v32
	v_med3_i32 v62, v74, 0, 13
	v_or_b32_e32 v74, 0x1000, v24
	v_lshl_or_b32 v75, v53, 12, v24
	v_add_nc_u32_e32 v51, 0xfffffc10, v51
	v_or_b32_e32 v76, 0x1000, v16
	v_or_b32_e32 v78, 0x1000, v26
	v_lshrrev_b32_e32 v85, v34, v64
	v_or_b32_e32 v80, 0x1000, v28
	v_lshl_or_b32 v73, v51, 12, v18
	v_add_nc_u32_e32 v49, 0xfffffc10, v49
	v_lshrrev_b32_e32 v86, v37, v66
	v_lshlrev_b32_e32 v34, v34, v85
	v_or_b32_e32 v82, 0x1000, v30
	v_lshrrev_b32_e32 v87, v39, v68
	v_lshl_or_b32 v71, v49, 12, v20
	v_add_nc_u32_e32 v47, 0xfffffc10, v47
	v_lshlrev_b32_e32 v37, v37, v86
	v_lshrrev_b32_e32 v88, v48, v70
	v_lshlrev_b32_e32 v39, v39, v87
	v_lshrrev_b32_e32 v89, v50, v72
	v_lshl_or_b32 v69, v47, 12, v9
	s_wait_alu 0xfffd
	v_cndmask_b32_e64 v9, 0, 1, vcc_lo
	v_cmp_ne_u32_e32 vcc_lo, 0, v20
	v_lshrrev_b32_e32 v90, v52, v74
	v_lshrrev_b32_e32 v91, v54, v76
	;; [unrolled: 1-line block ×3, first 2 shown]
	v_lshl_or_b32 v9, v9, 9, 0x7c00
	s_wait_alu 0xfffd
	v_cndmask_b32_e64 v20, 0, 1, vcc_lo
	v_cmp_ne_u32_e32 vcc_lo, 0, v18
	v_lshlrev_b32_e32 v52, v52, v90
	v_lshlrev_b32_e32 v54, v54, v91
	v_lshrrev_b32_e32 v93, v58, v80
	v_lshlrev_b32_e32 v56, v56, v92
	s_wait_alu 0xfffd
	v_cndmask_b32_e64 v18, 0, 1, vcc_lo
	v_cmp_ne_u32_e32 vcc_lo, 0, v24
	v_or_b32_e32 v84, 0x1000, v32
	v_lshrrev_b32_e32 v94, v60, v82
	v_lshlrev_b32_e32 v58, v58, v93
	v_lshl_or_b32 v13, v13, 9, 0x7c00
	s_wait_alu 0xfffd
	v_cndmask_b32_e64 v24, 0, 1, vcc_lo
	v_cmp_ne_u32_e32 vcc_lo, 0, v16
	v_lshrrev_b32_e32 v95, v62, v84
	v_lshlrev_b32_e32 v60, v60, v94
	v_lshl_or_b32 v18, v18, 9, 0x7c00
	v_lshl_or_b32 v20, v20, 9, 0x7c00
	s_wait_alu 0xfffd
	v_cndmask_b32_e64 v16, 0, 1, vcc_lo
	v_cmp_ne_u32_e32 vcc_lo, 0, v26
	v_lshlrev_b32_e32 v62, v62, v95
	v_lshl_or_b32 v24, v24, 9, 0x7c00
	v_lshrrev_b32_e32 v10, 16, v10
	v_lshl_or_b32 v16, v16, 9, 0x7c00
	s_wait_alu 0xfffd
	v_cndmask_b32_e64 v26, 0, 1, vcc_lo
	v_cmp_ne_u32_e32 vcc_lo, 0, v28
	v_lshrrev_b32_e32 v15, 16, v15
	v_lshrrev_b32_e32 v19, 16, v19
	;; [unrolled: 1-line block ×3, first 2 shown]
	v_lshl_or_b32 v26, v26, 9, 0x7c00
	s_wait_alu 0xfffd
	v_cndmask_b32_e64 v28, 0, 1, vcc_lo
	v_cmp_ne_u32_e32 vcc_lo, 0, v30
	v_lshrrev_b32_e32 v25, 16, v25
	v_lshrrev_b32_e32 v17, 16, v17
	;; [unrolled: 1-line block ×3, first 2 shown]
	v_lshl_or_b32 v28, v28, 9, 0x7c00
	s_wait_alu 0xfffd
	v_cndmask_b32_e64 v30, 0, 1, vcc_lo
	v_cmp_ne_u32_e32 vcc_lo, v34, v64
	v_and_or_b32 v2, 0x1ff, v3, v2
	v_lshrrev_b32_e32 v29, 16, v29
	v_lshrrev_b32_e32 v31, 16, v31
	v_lshl_or_b32 v30, v30, 9, 0x7c00
	s_wait_alu 0xfffd
	v_cndmask_b32_e64 v34, 0, 1, vcc_lo
	v_cmp_ne_u32_e32 vcc_lo, v37, v66
	v_and_or_b32 v0, 0x1ff, v1, v0
	s_delay_alu instid0(VALU_DEP_3) | instskip(SKIP_3) | instid1(VALU_DEP_2)
	v_or_b32_e32 v34, v85, v34
	s_wait_alu 0xfffd
	v_cndmask_b32_e64 v37, 0, 1, vcc_lo
	v_cmp_ne_u32_e32 vcc_lo, v39, v68
	v_or_b32_e32 v37, v86, v37
	v_lshlrev_b32_e32 v48, v48, v88
	s_wait_alu 0xfffd
	v_cndmask_b32_e64 v39, 0, 1, vcc_lo
	s_delay_alu instid0(VALU_DEP_2) | instskip(NEXT) | instid1(VALU_DEP_2)
	v_cmp_ne_u32_e32 vcc_lo, v48, v70
	v_or_b32_e32 v39, v87, v39
	v_lshlrev_b32_e32 v50, v50, v89
	s_wait_alu 0xfffd
	v_cndmask_b32_e64 v48, 0, 1, vcc_lo
	s_delay_alu instid0(VALU_DEP_2) | instskip(NEXT) | instid1(VALU_DEP_2)
	v_cmp_ne_u32_e32 vcc_lo, v50, v72
	v_or_b32_e32 v48, v88, v48
	s_wait_alu 0xfffd
	v_cndmask_b32_e64 v50, 0, 1, vcc_lo
	v_cmp_ne_u32_e32 vcc_lo, v52, v74
	s_delay_alu instid0(VALU_DEP_2) | instskip(SKIP_3) | instid1(VALU_DEP_2)
	v_or_b32_e32 v50, v89, v50
	s_wait_alu 0xfffd
	v_cndmask_b32_e64 v52, 0, 1, vcc_lo
	v_cmp_ne_u32_e32 vcc_lo, v54, v76
	v_or_b32_e32 v52, v90, v52
	s_wait_alu 0xfffd
	v_cndmask_b32_e64 v54, 0, 1, vcc_lo
	v_cmp_ne_u32_e32 vcc_lo, v56, v78
	s_delay_alu instid0(VALU_DEP_2) | instskip(SKIP_3) | instid1(VALU_DEP_2)
	v_or_b32_e32 v54, v91, v54
	s_wait_alu 0xfffd
	v_cndmask_b32_e64 v56, 0, 1, vcc_lo
	;; [unrolled: 9-line block ×3, first 2 shown]
	v_cmp_ne_u32_e32 vcc_lo, v62, v84
	v_or_b32_e32 v60, v94, v60
	s_wait_alu 0xfffd
	v_cndmask_b32_e64 v62, 0, 1, vcc_lo
	v_cmp_gt_i32_e32 vcc_lo, 1, v35
	s_wait_alu 0xfffd
	v_cndmask_b32_e32 v34, v65, v34, vcc_lo
	v_cmp_gt_i32_e32 vcc_lo, 1, v38
	s_wait_alu 0xfffd
	s_delay_alu instid0(VALU_DEP_2) | instskip(SKIP_2) | instid1(VALU_DEP_3)
	v_dual_cndmask_b32 v37, v67, v37 :: v_dual_and_b32 v64, 7, v34
	v_cmp_gt_i32_e32 vcc_lo, 1, v47
	v_lshrrev_b32_e32 v34, 2, v34
	v_cmp_eq_u32_e64 s0, 3, v64
	s_delay_alu instid0(VALU_DEP_4)
	v_and_b32_e32 v65, 7, v37
	s_wait_alu 0xfffd
	v_cndmask_b32_e32 v39, v69, v39, vcc_lo
	v_cmp_gt_i32_e32 vcc_lo, 1, v49
	v_lshrrev_b32_e32 v37, 2, v37
	v_cmp_lt_i32_e64 s1, 5, v65
	s_delay_alu instid0(VALU_DEP_4)
	v_and_b32_e32 v66, 7, v39
	s_wait_alu 0xfffd
	v_cndmask_b32_e32 v48, v71, v48, vcc_lo
	v_cmp_gt_i32_e32 vcc_lo, 1, v51
	v_cmp_eq_u32_e64 s2, 3, v65
	v_lshrrev_b32_e32 v39, 2, v39
	v_cmp_lt_i32_e64 s3, 5, v66
	s_wait_alu 0xfffd
	v_dual_cndmask_b32 v50, v73, v50 :: v_dual_and_b32 v67, 7, v48
	v_cmp_gt_i32_e32 vcc_lo, 1, v53
	v_cmp_eq_u32_e64 s4, 3, v66
	v_lshrrev_b32_e32 v48, 2, v48
	s_delay_alu instid0(VALU_DEP_4)
	v_cmp_lt_i32_e64 s5, 5, v67
	v_and_b32_e32 v68, 7, v50
	s_wait_alu 0xfffd
	v_cndmask_b32_e32 v52, v75, v52, vcc_lo
	v_cmp_gt_i32_e32 vcc_lo, 1, v55
	v_cmp_eq_u32_e64 s6, 3, v67
	v_lshrrev_b32_e32 v50, 2, v50
	v_cmp_lt_i32_e64 s7, 5, v68
	s_wait_alu 0xfffd
	v_dual_cndmask_b32 v54, v77, v54 :: v_dual_and_b32 v69, 7, v52
	v_cmp_gt_i32_e32 vcc_lo, 1, v57
	v_cmp_eq_u32_e64 s8, 3, v68
	v_lshrrev_b32_e32 v52, 2, v52
	s_delay_alu instid0(VALU_DEP_4)
	v_cmp_lt_i32_e64 s9, 5, v69
	;; [unrolled: 14-line block ×3, first 2 shown]
	v_and_b32_e32 v72, 7, v58
	s_wait_alu 0xfffd
	v_cndmask_b32_e32 v60, v83, v60, vcc_lo
	v_cmp_lt_i32_e32 vcc_lo, 5, v64
	v_cmp_eq_u32_e64 s14, 3, v71
	v_lshrrev_b32_e32 v58, 2, v58
	v_cmp_lt_i32_e64 s15, 5, v72
	v_and_b32_e32 v73, 7, v60
	s_or_b32 vcc_lo, s0, vcc_lo
	v_cmp_eq_u32_e64 s16, 3, v72
	s_wait_alu 0xfffe
	v_add_co_ci_u32_e32 v34, vcc_lo, 0, v34, vcc_lo
	s_or_b32 vcc_lo, s2, s1
	v_cmp_lt_i32_e64 s17, 5, v73
	s_wait_alu 0xfffe
	v_add_co_ci_u32_e32 v37, vcc_lo, 0, v37, vcc_lo
	s_or_b32 vcc_lo, s4, s3
	v_cmp_eq_u32_e64 s18, 3, v73
	s_wait_alu 0xfffe
	v_add_co_ci_u32_e32 v39, vcc_lo, 0, v39, vcc_lo
	s_or_b32 vcc_lo, s6, s5
	v_lshrrev_b32_e32 v60, 2, v60
	s_wait_alu 0xfffe
	v_add_co_ci_u32_e32 v48, vcc_lo, 0, v48, vcc_lo
	s_or_b32 vcc_lo, s8, s7
	s_wait_alu 0xfffe
	v_add_co_ci_u32_e32 v50, vcc_lo, 0, v50, vcc_lo
	s_or_b32 vcc_lo, s10, s9
	;; [unrolled: 3-line block ×6, first 2 shown]
	s_wait_alu 0xfffe
	v_add_co_ci_u32_e32 v60, vcc_lo, 0, v60, vcc_lo
	v_cmp_gt_i32_e32 vcc_lo, 31, v35
	s_wait_alu 0xfffd
	v_cndmask_b32_e32 v34, 0x7c00, v34, vcc_lo
	v_cmp_gt_i32_e32 vcc_lo, 31, v38
	s_wait_alu 0xfffd
	v_cndmask_b32_e32 v37, 0x7c00, v37, vcc_lo
	;; [unrolled: 3-line block ×10, first 2 shown]
	v_cmp_eq_u32_e32 vcc_lo, 0x40f, v35
	s_wait_alu 0xfffd
	v_cndmask_b32_e32 v13, v34, v13, vcc_lo
	v_cmp_eq_u32_e32 vcc_lo, 0x40f, v38
	s_delay_alu instid0(VALU_DEP_2) | instskip(SKIP_3) | instid1(VALU_DEP_3)
	v_and_or_b32 v13, 0x8000, v36, v13
	s_wait_alu 0xfffd
	v_cndmask_b32_e32 v14, v37, v14, vcc_lo
	v_cmp_eq_u32_e32 vcc_lo, 0x40f, v47
	v_and_b32_e32 v13, 0xffff, v13
	s_delay_alu instid0(VALU_DEP_3)
	v_and_or_b32 v14, 0x8000, v15, v14
	s_wait_alu 0xfffd
	v_cndmask_b32_e32 v9, v39, v9, vcc_lo
	v_cmp_eq_u32_e32 vcc_lo, 0x40f, v49
	v_add_nc_u32_e32 v63, 0xfffffc10, v63
	v_lshl_or_b32 v13, v14, 16, v13
	s_delay_alu instid0(VALU_DEP_4) | instskip(SKIP_3) | instid1(VALU_DEP_3)
	v_and_or_b32 v9, 0x8000, v10, v9
	s_wait_alu 0xfffd
	v_cndmask_b32_e32 v20, v48, v20, vcc_lo
	v_cmp_eq_u32_e32 vcc_lo, 0x40f, v51
	v_and_b32_e32 v9, 0xffff, v9
	s_delay_alu instid0(VALU_DEP_3) | instskip(SKIP_3) | instid1(VALU_DEP_3)
	v_and_or_b32 v10, 0x8000, v21, v20
	s_wait_alu 0xfffd
	v_cndmask_b32_e32 v18, v50, v18, vcc_lo
	v_cmp_eq_u32_e32 vcc_lo, 0x40f, v53
	v_lshl_or_b32 v9, v10, 16, v9
	s_delay_alu instid0(VALU_DEP_3) | instskip(SKIP_3) | instid1(VALU_DEP_3)
	v_and_or_b32 v15, 0x8000, v19, v18
	s_wait_alu 0xfffd
	v_cndmask_b32_e32 v24, v52, v24, vcc_lo
	v_cmp_eq_u32_e32 vcc_lo, 0x40f, v55
	v_and_b32_e32 v15, 0xffff, v15
	s_delay_alu instid0(VALU_DEP_3)
	v_and_or_b32 v18, 0x8000, v25, v24
	s_wait_alu 0xfffd
	v_cndmask_b32_e32 v16, v54, v16, vcc_lo
	v_cmp_eq_u32_e32 vcc_lo, 0x40f, v57
	v_bfe_u32 v25, v1, 20, 11
	v_lshl_or_b32 v10, v18, 16, v15
	s_delay_alu instid0(VALU_DEP_4)
	v_and_or_b32 v16, 0x8000, v17, v16
	s_wait_alu 0xfffd
	v_cndmask_b32_e32 v26, v56, v26, vcc_lo
	v_cmp_eq_u32_e32 vcc_lo, 0x40f, v59
	s_clause 0x2
	global_store_b32 v[11:12], v13, off
	global_store_b32 v[22:23], v9, off
	;; [unrolled: 1-line block ×3, first 2 shown]
	v_add_nc_u32_e32 v9, 0xc00, v40
	v_and_b32_e32 v16, 0xffff, v16
	v_and_or_b32 v17, 0x8000, v27, v26
	s_wait_alu 0xfffd
	v_cndmask_b32_e32 v28, v58, v28, vcc_lo
	v_cmp_eq_u32_e32 vcc_lo, 0x40f, v61
	v_or_b32_e32 v12, v95, v62
	v_lshl_or_b32 v13, v63, 12, v32
	v_lshl_or_b32 v15, v17, 16, v16
	v_and_or_b32 v14, 0x8000, v29, v28
	s_wait_alu 0xfffd
	v_cndmask_b32_e32 v30, v60, v30, vcc_lo
	v_cmp_ne_u32_e32 vcc_lo, 0, v2
	v_lshrrev_b32_e32 v16, 8, v3
	ds_load_2addr_b32 v[9:10], v9 offset0:114 offset1:240
	v_bfe_u32 v17, v3, 20, 11
	v_and_or_b32 v11, 0x8000, v31, v30
	s_wait_alu 0xfffd
	v_cndmask_b32_e64 v2, 0, 1, vcc_lo
	v_cmp_gt_i32_e32 vcc_lo, 1, v63
	v_and_b32_e32 v14, 0xffff, v14
	global_store_b32 v[43:44], v15, off
	s_wait_loadcnt 0x3
	v_lshrrev_b32_e32 v22, 16, v8
	v_and_or_b32 v2, 0xffe, v16, v2
	s_wait_alu 0xfffd
	v_cndmask_b32_e32 v13, v13, v12, vcc_lo
	v_sub_nc_u32_e32 v12, 0x3f1, v17
	v_lshl_or_b32 v18, v11, 16, v14
	v_add_co_u32 v11, vcc_lo, v43, s22
	s_delay_alu instid0(VALU_DEP_4)
	v_and_b32_e32 v14, 7, v13
	v_or_b32_e32 v15, 0x1000, v2
	v_med3_i32 v16, v12, 0, 13
	s_wait_alu 0xfffd
	v_add_co_ci_u32_e32 v12, vcc_lo, s23, v44, vcc_lo
	v_cmp_lt_i32_e32 vcc_lo, 5, v14
	v_cmp_eq_u32_e64 s0, 3, v14
	v_lshrrev_b32_e32 v19, v16, v15
	v_lshrrev_b32_e32 v13, 2, v13
	s_wait_dscnt 0x0
	v_lshrrev_b32_e32 v20, 16, v9
	v_add_nc_u32_e32 v17, 0xfffffc10, v17
	s_or_b32 vcc_lo, s0, vcc_lo
	v_lshlrev_b32_e32 v16, v16, v19
	s_wait_alu 0xfffe
	v_add_co_ci_u32_e32 v23, vcc_lo, 0, v13, vcc_lo
	v_mul_f64_e32 v[13:14], s[24:25], v[45:46]
	v_mul_f16_e32 v24, v20, v22
	v_cmp_ne_u32_e32 vcc_lo, v16, v15
	v_lshrrev_b32_e32 v16, 8, v1
	global_load_b32 v21, v40, s[20:21] offset:5544
	v_lshl_or_b32 v26, v17, 12, v2
	v_fmac_f16_e32 v24, v9, v8
	s_wait_alu 0xfffd
	v_cndmask_b32_e64 v15, 0, 1, vcc_lo
	v_cmp_ne_u32_e32 vcc_lo, 0, v0
	global_store_b32 v[11:12], v18, off
	v_mul_f16_e32 v9, v9, v22
	v_cvt_f32_f16_e32 v24, v24
	v_or_b32_e32 v19, v19, v15
	s_wait_alu 0xfffd
	v_cndmask_b32_e64 v0, 0, 1, vcc_lo
	v_cmp_ne_u32_e32 vcc_lo, 0, v32
	v_fma_f16 v8, v8, v20, -v9
	v_lshrrev_b32_e32 v3, 16, v3
	v_lshrrev_b32_e32 v1, 16, v1
	v_and_or_b32 v0, 0xffe, v16, v0
	v_cvt_f64_f32_e32 v[15:16], v24
	s_wait_alu 0xfffd
	v_cndmask_b32_e64 v27, 0, 1, vcc_lo
	v_cmp_gt_i32_e32 vcc_lo, 1, v17
	v_sub_nc_u32_e32 v24, 0x3f1, v25
	v_cvt_f32_f16_e32 v8, v8
	s_delay_alu instid0(VALU_DEP_4)
	v_lshl_or_b32 v27, v27, 9, 0x7c00
	s_wait_alu 0xfffd
	v_cndmask_b32_e32 v19, v26, v19, vcc_lo
	v_cmp_gt_i32_e32 vcc_lo, 31, v63
	v_or_b32_e32 v26, 0x1000, v0
	v_med3_i32 v24, v24, 0, 13
	v_cvt_f64_f32_e32 v[8:9], v8
	v_and_b32_e32 v28, 7, v19
	s_wait_alu 0xfffd
	v_cndmask_b32_e32 v23, 0x7c00, v23, vcc_lo
	v_cmp_eq_u32_e32 vcc_lo, 0x40f, v63
	v_lshrrev_b32_e32 v18, v24, v26
	v_lshrrev_b32_e32 v19, 2, v19
	v_cmp_eq_u32_e64 s0, 3, v28
	s_wait_alu 0xfffd
	v_cndmask_b32_e32 v23, v23, v27, vcc_lo
	v_cmp_lt_i32_e32 vcc_lo, 5, v28
	v_lshlrev_b32_e32 v24, v24, v18
	v_and_or_b32 v13, 0x1ff, v14, v13
	v_lshrrev_b32_e32 v27, 16, v33
	s_or_b32 vcc_lo, s0, vcc_lo
	s_delay_alu instid0(VALU_DEP_3)
	v_cmp_ne_u32_e64 s1, v24, v26
	s_wait_alu 0xfffe
	v_add_co_ci_u32_e32 v19, vcc_lo, 0, v19, vcc_lo
	v_cmp_ne_u32_e32 vcc_lo, 0, v13
	v_add_nc_u32_e32 v24, 0xfffffc10, v25
	s_wait_alu 0xf1ff
	v_cndmask_b32_e64 v22, 0, 1, s1
	v_bfe_u32 v25, v14, 20, 11
	s_wait_alu 0xfffd
	v_cndmask_b32_e64 v13, 0, 1, vcc_lo
	v_cmp_ne_u32_e32 vcc_lo, 0, v2
	v_or_b32_e32 v18, v18, v22
	v_lshl_or_b32 v20, v24, 12, v0
	v_lshrrev_b32_e32 v22, 8, v14
	v_mul_f64_e32 v[15:16], s[24:25], v[15:16]
	s_wait_alu 0xfffd
	v_cndmask_b32_e64 v2, 0, 1, vcc_lo
	v_cmp_gt_i32_e32 vcc_lo, 1, v24
	v_cmp_eq_u32_e64 s1, 0x40f, v24
	v_and_or_b32 v13, 0xffe, v22, v13
	s_delay_alu instid0(VALU_DEP_4)
	v_lshl_or_b32 v2, v2, 9, 0x7c00
	s_wait_alu 0xfffd
	v_cndmask_b32_e32 v18, v20, v18, vcc_lo
	v_cmp_gt_i32_e32 vcc_lo, 31, v17
	v_sub_nc_u32_e32 v20, 0x3f1, v25
	v_or_b32_e32 v26, 0x1000, v13
	s_wait_alu 0xfffd
	v_dual_cndmask_b32 v19, 0x7c00, v19 :: v_dual_and_b32 v22, 7, v18
	v_cmp_eq_u32_e32 vcc_lo, 0x40f, v17
	v_med3_i32 v20, v20, 0, 13
	v_and_or_b32 v17, 0x8000, v27, v23
	s_delay_alu instid0(VALU_DEP_4)
	v_cmp_eq_u32_e64 s0, 3, v22
	s_wait_loadcnt 0x3
	v_lshrrev_b32_e32 v23, 16, v6
	s_wait_alu 0xfffd
	v_cndmask_b32_e32 v2, v19, v2, vcc_lo
	v_lshrrev_b32_e32 v19, v20, v26
	v_and_b32_e32 v17, 0xffff, v17
	v_cmp_lt_i32_e32 vcc_lo, 5, v22
	v_lshrrev_b32_e32 v22, 16, v10
	v_and_or_b32 v2, 0x8000, v3, v2
	v_lshrrev_b32_e32 v3, 2, v18
	v_lshlrev_b32_e32 v18, v20, v19
	s_or_b32 vcc_lo, s0, vcc_lo
	s_delay_alu instid0(VALU_DEP_3)
	v_lshl_or_b32 v20, v2, 16, v17
	s_wait_alu 0xfffe
	v_add_co_ci_u32_e32 v3, vcc_lo, 0, v3, vcc_lo
	v_cmp_ne_u32_e32 vcc_lo, v18, v26
	v_add_nc_u32_e32 v18, 0xfffffc10, v25
	s_wait_alu 0xfffd
	v_cndmask_b32_e64 v2, 0, 1, vcc_lo
	v_cmp_gt_i32_e32 vcc_lo, 31, v24
	v_bfe_u32 v25, v16, 20, 11
	s_delay_alu instid0(VALU_DEP_3)
	v_or_b32_e32 v19, v19, v2
	s_wait_alu 0xfffd
	v_cndmask_b32_e32 v17, 0x7c00, v3, vcc_lo
	v_cmp_ne_u32_e32 vcc_lo, 0, v0
	v_mul_f64_e32 v[2:3], s[24:25], v[8:9]
	v_lshl_or_b32 v8, v18, 12, v13
	v_and_or_b32 v9, 0x1ff, v16, v15
	v_mul_f16_e32 v15, v22, v23
	s_wait_alu 0xfffd
	v_cndmask_b32_e64 v0, 0, 1, vcc_lo
	v_cmp_gt_i32_e32 vcc_lo, 1, v18
	v_sub_nc_u32_e32 v28, 0x3f1, v25
	v_fmac_f16_e32 v15, v10, v6
	s_delay_alu instid0(VALU_DEP_4)
	v_lshl_or_b32 v0, v0, 9, 0x7c00
	s_wait_alu 0xfffd
	v_cndmask_b32_e32 v19, v8, v19, vcc_lo
	v_cmp_ne_u32_e32 vcc_lo, 0, v9
	v_lshrrev_b32_e32 v9, 8, v16
	v_cvt_f32_f16_e32 v15, v15
	v_cndmask_b32_e64 v0, v17, v0, s1
	v_and_b32_e32 v26, 7, v19
	s_wait_alu 0xfffd
	v_cndmask_b32_e64 v8, 0, 1, vcc_lo
	v_lshrrev_b32_e32 v17, 2, v19
	v_mul_f16_e32 v10, v10, v23
	v_and_or_b32 v24, 0x8000, v1, v0
	v_cmp_lt_i32_e32 vcc_lo, 5, v26
	v_and_or_b32 v27, 0xffe, v9, v8
	v_cvt_f64_f32_e32 v[8:9], v15
	v_cmp_eq_u32_e64 s0, 3, v26
	v_med3_i32 v26, v28, 0, 13
	v_fma_f16 v6, v6, v22, -v10
	v_or_b32_e32 v15, 0x1000, v27
	v_and_b32_e32 v24, 0xffff, v24
	s_or_b32 vcc_lo, s0, vcc_lo
	s_wait_alu 0xfffe
	v_add_co_ci_u32_e32 v17, vcc_lo, 0, v17, vcc_lo
	v_lshrrev_b32_e32 v19, v26, v15
	v_cmp_ne_u32_e32 vcc_lo, 0, v13
	v_cvt_f32_f16_e32 v6, v6
	s_delay_alu instid0(VALU_DEP_3)
	v_lshlrev_b32_e32 v0, v26, v19
	s_wait_alu 0xfffd
	v_cndmask_b32_e64 v13, 0, 1, vcc_lo
	v_cmp_gt_i32_e32 vcc_lo, 31, v18
	v_and_or_b32 v1, 0x1ff, v3, v2
	v_add_nc_u32_e32 v2, 0xfffffc10, v25
	v_bfe_u32 v23, v3, 20, 11
	v_lshl_or_b32 v13, v13, 9, 0x7c00
	s_wait_alu 0xfffd
	v_cndmask_b32_e32 v17, 0x7c00, v17, vcc_lo
	v_cmp_ne_u32_e32 vcc_lo, v0, v15
	v_lshrrev_b32_e32 v15, 8, v3
	v_lshl_or_b32 v10, v2, 12, v27
	s_wait_alu 0xfffd
	v_cndmask_b32_e64 v0, 0, 1, vcc_lo
	v_cmp_ne_u32_e32 vcc_lo, 0, v1
	s_delay_alu instid0(VALU_DEP_2) | instskip(SKIP_3) | instid1(VALU_DEP_2)
	v_or_b32_e32 v0, v19, v0
	s_wait_alu 0xfffd
	v_cndmask_b32_e64 v1, 0, 1, vcc_lo
	v_cmp_gt_i32_e32 vcc_lo, 1, v2
	v_and_or_b32 v15, 0xffe, v15, v1
	v_sub_nc_u32_e32 v1, 0x3f1, v23
	s_wait_alu 0xfffd
	v_cndmask_b32_e32 v19, v10, v0, vcc_lo
	v_cmp_eq_u32_e32 vcc_lo, 0x40f, v18
	v_or_b32_e32 v22, 0x1000, v15
	v_med3_i32 v25, v1, 0, 13
	v_mul_f64_e32 v[0:1], s[24:25], v[8:9]
	v_cvt_f64_f32_e32 v[8:9], v6
	s_wait_alu 0xfffd
	v_cndmask_b32_e32 v6, v17, v13, vcc_lo
	ds_load_2addr_b32 v[17:18], v4 offset0:110 offset1:236
	v_lshrrev_b32_e32 v4, 16, v14
	v_lshrrev_b32_e32 v14, v25, v22
	v_and_b32_e32 v13, 7, v19
	v_add_co_u32 v10, vcc_lo, v11, s22
	s_wait_alu 0xfffd
	v_add_co_ci_u32_e32 v11, vcc_lo, s23, v12, vcc_lo
	v_lshrrev_b32_e32 v12, 2, v19
	v_add_nc_u32_e32 v19, 0xfffffc10, v23
	v_and_or_b32 v4, 0x8000, v4, v6
	v_lshlrev_b32_e32 v6, v25, v14
	v_cmp_lt_i32_e32 vcc_lo, 5, v13
	v_cmp_eq_u32_e64 s0, 3, v13
	s_wait_loadcnt 0x2
	v_lshrrev_b32_e32 v23, 16, v5
	v_lshl_or_b32 v13, v19, 12, v15
	v_cmp_ne_u32_e64 s1, v6, v22
	v_lshl_or_b32 v24, v4, 16, v24
	s_or_b32 vcc_lo, s0, vcc_lo
	s_wait_alu 0xfffe
	v_add_co_ci_u32_e32 v12, vcc_lo, 0, v12, vcc_lo
	v_cndmask_b32_e64 v6, 0, 1, s1
	s_wait_dscnt 0x0
	v_lshrrev_b32_e32 v22, 16, v17
	v_cmp_ne_u32_e32 vcc_lo, 0, v27
	s_delay_alu instid0(VALU_DEP_3) | instskip(NEXT) | instid1(VALU_DEP_3)
	v_or_b32_e32 v6, v14, v6
	v_mul_f16_e32 v25, v22, v23
	s_wait_alu 0xfffd
	v_cndmask_b32_e64 v14, 0, 1, vcc_lo
	v_cmp_gt_i32_e32 vcc_lo, 1, v19
	s_delay_alu instid0(VALU_DEP_3)
	v_fmac_f16_e32 v25, v17, v5
	s_wait_alu 0xfffd
	v_cndmask_b32_e32 v6, v13, v6, vcc_lo
	v_cmp_gt_i32_e32 vcc_lo, 31, v2
	v_mul_f64_e32 v[8:9], s[24:25], v[8:9]
	v_lshl_or_b32 v13, v14, 9, 0x7c00
	v_and_or_b32 v0, 0x1ff, v1, v0
	v_cvt_f32_f16_e32 v25, v25
	s_wait_alu 0xfffd
	v_cndmask_b32_e32 v12, 0x7c00, v12, vcc_lo
	v_cmp_eq_u32_e32 vcc_lo, 0x40f, v2
	v_and_b32_e32 v14, 7, v6
	v_cmp_ne_u32_e64 s0, 0, v0
	v_bfe_u32 v26, v1, 20, 11
	v_lshrrev_b32_e32 v6, 2, v6
	s_wait_alu 0xfffd
	v_cndmask_b32_e32 v2, v12, v13, vcc_lo
	v_cvt_f64_f32_e32 v[12:13], v25
	v_cmp_lt_i32_e32 vcc_lo, 5, v14
	s_wait_alu 0xf1ff
	v_cndmask_b32_e64 v0, 0, 1, s0
	v_cmp_eq_u32_e64 s0, 3, v14
	v_lshrrev_b32_e32 v25, 8, v1
	v_lshrrev_b32_e32 v14, 16, v16
	v_sub_nc_u32_e32 v16, 0x3f1, v26
	v_lshrrev_b32_e32 v1, 16, v1
	s_or_b32 vcc_lo, s0, vcc_lo
	v_and_or_b32 v0, 0xffe, v25, v0
	s_wait_alu 0xfffe
	v_add_co_ci_u32_e32 v6, vcc_lo, 0, v6, vcc_lo
	v_cmp_ne_u32_e32 vcc_lo, 0, v15
	v_med3_i32 v16, v16, 0, 13
	v_or_b32_e32 v25, 0x1000, v0
	v_and_or_b32 v14, 0x8000, v14, v2
	s_wait_alu 0xfffd
	v_cndmask_b32_e64 v15, 0, 1, vcc_lo
	v_cmp_gt_i32_e32 vcc_lo, 31, v19
	v_lshrrev_b32_e32 v4, v16, v25
	v_and_b32_e32 v14, 0xffff, v14
	s_delay_alu instid0(VALU_DEP_4)
	v_lshl_or_b32 v15, v15, 9, 0x7c00
	s_wait_alu 0xfffd
	v_cndmask_b32_e32 v6, 0x7c00, v6, vcc_lo
	v_cmp_eq_u32_e32 vcc_lo, 0x40f, v19
	v_lshlrev_b32_e32 v16, v16, v4
	v_and_or_b32 v8, 0x1ff, v9, v8
	v_bfe_u32 v19, v9, 20, 11
	s_wait_alu 0xfffd
	v_cndmask_b32_e32 v6, v6, v15, vcc_lo
	v_add_co_u32 v2, vcc_lo, v10, s22
	v_lshrrev_b32_e32 v15, 16, v3
	s_wait_alu 0xfffd
	v_add_co_ci_u32_e32 v3, vcc_lo, s23, v11, vcc_lo
	v_cmp_ne_u32_e32 vcc_lo, v16, v25
	v_mul_f16_e32 v16, v17, v23
	v_and_or_b32 v6, 0x8000, v15, v6
	v_add_nc_u32_e32 v17, 0xfffffc10, v26
	v_mul_f64_e32 v[12:13], s[24:25], v[12:13]
	s_wait_alu 0xfffd
	v_cndmask_b32_e64 v15, 0, 1, vcc_lo
	v_cmp_ne_u32_e32 vcc_lo, 0, v8
	v_fma_f16 v5, v5, v22, -v16
	v_lshrrev_b32_e32 v16, 8, v9
	global_store_b32 v[10:11], v20, off
	global_store_b32 v[2:3], v24, off
	v_or_b32_e32 v4, v4, v15
	s_wait_alu 0xfffd
	v_cndmask_b32_e64 v8, 0, 1, vcc_lo
	v_lshl_or_b32 v15, v17, 12, v0
	v_cvt_f32_f16_e32 v5, v5
	v_cmp_gt_i32_e32 vcc_lo, 1, v17
	v_lshl_or_b32 v20, v6, 16, v14
	v_and_or_b32 v8, 0xffe, v16, v8
	v_sub_nc_u32_e32 v16, 0x3f1, v19
	s_wait_loadcnt 0x1
	v_lshrrev_b32_e32 v14, 16, v7
	s_wait_alu 0xfffd
	v_cndmask_b32_e32 v15, v15, v4, vcc_lo
	v_cvt_f64_f32_e32 v[4:5], v5
	v_or_b32_e32 v22, 0x1000, v8
	v_med3_i32 v16, v16, 0, 13
	v_add_co_u32 v2, vcc_lo, v2, s22
	v_and_b32_e32 v6, 7, v15
	s_wait_alu 0xfffd
	v_add_co_ci_u32_e32 v3, vcc_lo, s23, v3, vcc_lo
	v_lshrrev_b32_e32 v10, v16, v22
	v_lshrrev_b32_e32 v15, 2, v15
	v_cmp_lt_i32_e32 vcc_lo, 5, v6
	v_cmp_eq_u32_e64 s0, 3, v6
	v_lshrrev_b32_e32 v6, 16, v18
	v_lshlrev_b32_e32 v11, v16, v10
	v_add_nc_u32_e32 v16, 0xfffffc10, v19
	v_lshrrev_b32_e32 v9, 16, v9
	s_or_b32 vcc_lo, s0, vcc_lo
	v_mul_f16_e32 v19, v6, v14
	v_cmp_ne_u32_e64 s1, v11, v22
	s_wait_alu 0xfffe
	v_add_co_ci_u32_e32 v15, vcc_lo, 0, v15, vcc_lo
	v_cmp_ne_u32_e32 vcc_lo, 0, v0
	v_fmac_f16_e32 v19, v18, v7
	s_wait_alu 0xf1ff
	v_cndmask_b32_e64 v11, 0, 1, s1
	v_and_or_b32 v12, 0x1ff, v13, v12
	v_lshrrev_b32_e32 v23, 8, v13
	s_wait_alu 0xfffd
	v_cndmask_b32_e64 v0, 0, 1, vcc_lo
	v_cmp_gt_i32_e32 vcc_lo, 1, v16
	v_or_b32_e32 v10, v10, v11
	v_lshl_or_b32 v11, v16, 12, v8
	v_cvt_f32_f16_e32 v19, v19
	v_lshl_or_b32 v0, v0, 9, 0x7c00
	v_cmp_eq_u32_e64 s1, 0x40f, v17
	v_mul_f16_e32 v14, v18, v14
	s_wait_alu 0xfffd
	v_cndmask_b32_e32 v22, v11, v10, vcc_lo
	v_cmp_ne_u32_e32 vcc_lo, 0, v12
	v_cvt_f64_f32_e32 v[10:11], v19
	v_bfe_u32 v19, v13, 20, 11
	v_mul_f64_e32 v[4:5], s[24:25], v[4:5]
	v_fma_f16 v6, v7, v6, -v14
	s_wait_alu 0xfffd
	v_cndmask_b32_e64 v12, 0, 1, vcc_lo
	v_cmp_gt_i32_e32 vcc_lo, 31, v17
	s_delay_alu instid0(VALU_DEP_3) | instskip(NEXT) | instid1(VALU_DEP_3)
	v_cvt_f32_f16_e32 v6, v6
	v_and_or_b32 v12, 0xffe, v23, v12
	v_sub_nc_u32_e32 v23, 0x3f1, v19
	v_add_nc_u32_e32 v19, 0xfffffc10, v19
	s_wait_alu 0xfffd
	v_dual_cndmask_b32 v15, 0x7c00, v15 :: v_dual_and_b32 v24, 7, v22
	s_wait_loadcnt 0x0
	v_lshrrev_b32_e32 v18, 16, v21
	v_med3_i32 v23, v23, 0, 13
	s_delay_alu instid0(VALU_DEP_3)
	v_cmp_lt_i32_e32 vcc_lo, 5, v24
	v_cmp_eq_u32_e64 s0, 3, v24
	s_wait_alu 0xf1ff
	v_cndmask_b32_e64 v0, v15, v0, s1
	v_lshrrev_b32_e32 v15, 2, v22
	v_or_b32_e32 v24, 0x1000, v12
	s_or_b32 vcc_lo, s0, vcc_lo
	s_delay_alu instid0(VALU_DEP_3)
	v_and_or_b32 v22, 0x8000, v1, v0
	s_wait_alu 0xfffe
	v_add_co_ci_u32_e32 v15, vcc_lo, 0, v15, vcc_lo
	v_lshrrev_b32_e32 v17, v23, v24
	v_cmp_ne_u32_e32 vcc_lo, 0, v8
	v_and_b32_e32 v22, 0xffff, v22
	s_delay_alu instid0(VALU_DEP_3) | instskip(SKIP_3) | instid1(VALU_DEP_2)
	v_lshlrev_b32_e32 v0, v23, v17
	s_wait_alu 0xfffd
	v_cndmask_b32_e64 v8, 0, 1, vcc_lo
	v_cmp_gt_i32_e32 vcc_lo, 31, v16
	v_lshl_or_b32 v8, v8, 9, 0x7c00
	s_wait_alu 0xfffd
	v_cndmask_b32_e32 v1, 0x7c00, v15, vcc_lo
	v_cmp_ne_u32_e32 vcc_lo, v0, v24
	v_add_nc_u32_e32 v15, 0x1400, v40
	v_and_or_b32 v4, 0x1ff, v5, v4
	v_mul_f64_e32 v[10:11], s[24:25], v[10:11]
	v_lshrrev_b32_e32 v7, 8, v5
	s_wait_alu 0xfffd
	v_cndmask_b32_e64 v23, 0, 1, vcc_lo
	v_cmp_eq_u32_e32 vcc_lo, 0x40f, v16
	v_lshl_or_b32 v16, v19, 12, v12
	s_wait_alu 0xfffd
	v_cndmask_b32_e32 v8, v1, v8, vcc_lo
	ds_load_2addr_b32 v[0:1], v15 offset0:106 offset1:232
	v_or_b32_e32 v15, v17, v23
	v_cmp_gt_i32_e32 vcc_lo, 1, v19
	v_and_or_b32 v8, 0x8000, v9, v8
	s_wait_alu 0xfffd
	s_delay_alu instid0(VALU_DEP_3) | instskip(SKIP_3) | instid1(VALU_DEP_4)
	v_cndmask_b32_e32 v14, v16, v15, vcc_lo
	v_cmp_ne_u32_e32 vcc_lo, 0, v4
	v_bfe_u32 v15, v5, 20, 11
	v_lshl_or_b32 v22, v8, 16, v22
	v_and_b32_e32 v9, 7, v14
	s_wait_alu 0xfffd
	v_cndmask_b32_e64 v4, 0, 1, vcc_lo
	v_sub_nc_u32_e32 v16, 0x3f1, v15
	v_lshrrev_b32_e32 v8, 2, v14
	v_cmp_lt_i32_e32 vcc_lo, 5, v9
	s_delay_alu instid0(VALU_DEP_4)
	v_and_or_b32 v4, 0xffe, v7, v4
	v_cvt_f64_f32_e32 v[6:7], v6
	s_wait_dscnt 0x0
	v_lshrrev_b32_e32 v17, 16, v0
	v_cmp_eq_u32_e64 s0, 3, v9
	v_med3_i32 v16, v16, 0, 13
	v_or_b32_e32 v23, 0x1000, v4
	s_delay_alu instid0(VALU_DEP_4) | instskip(NEXT) | instid1(VALU_DEP_4)
	v_mul_f16_e32 v24, v17, v18
	s_or_b32 vcc_lo, s0, vcc_lo
	s_wait_alu 0xfffe
	v_add_co_ci_u32_e32 v8, vcc_lo, 0, v8, vcc_lo
	v_lshrrev_b32_e32 v14, v16, v23
	v_fmac_f16_e32 v24, v0, v21
	v_cmp_ne_u32_e32 vcc_lo, 0, v12
	v_and_or_b32 v10, 0x1ff, v11, v10
	v_mul_f16_e32 v0, v0, v18
	v_lshlrev_b32_e32 v12, v16, v14
	v_cvt_f32_f16_e32 v16, v24
	s_wait_alu 0xfffd
	v_cndmask_b32_e64 v9, 0, 1, vcc_lo
	v_cmp_gt_i32_e32 vcc_lo, 31, v19
	v_bfe_u32 v18, v11, 20, 11
	v_fma_f16 v0, v21, v17, -v0
	s_delay_alu instid0(VALU_DEP_4)
	v_lshl_or_b32 v25, v9, 9, 0x7c00
	s_wait_alu 0xfffd
	v_cndmask_b32_e32 v24, 0x7c00, v8, vcc_lo
	v_cvt_f64_f32_e32 v[8:9], v16
	v_cmp_ne_u32_e32 vcc_lo, v12, v23
	v_add_nc_u32_e32 v16, 0xfffffc10, v15
	v_lshrrev_b32_e32 v15, 8, v11
	v_cvt_f32_f16_e32 v0, v0
	v_lshrrev_b32_e32 v11, 16, v11
	s_wait_alu 0xfffd
	v_cndmask_b32_e64 v12, 0, 1, vcc_lo
	v_cmp_ne_u32_e32 vcc_lo, 0, v10
	s_delay_alu instid0(VALU_DEP_2)
	v_or_b32_e32 v12, v14, v12
	s_wait_alu 0xfffd
	v_cndmask_b32_e64 v10, 0, 1, vcc_lo
	v_lshl_or_b32 v14, v16, 12, v4
	v_cmp_gt_i32_e32 vcc_lo, 1, v16
	v_mul_f64_e32 v[6:7], s[24:25], v[6:7]
	s_delay_alu instid0(VALU_DEP_4)
	v_and_or_b32 v10, 0xffe, v15, v10
	v_sub_nc_u32_e32 v15, 0x3f1, v18
	s_wait_alu 0xfffd
	v_cndmask_b32_e32 v17, v14, v12, vcc_lo
	v_cmp_eq_u32_e32 vcc_lo, 0x40f, v19
	v_lshrrev_b32_e32 v19, 16, v13
	v_or_b32_e32 v21, 0x1000, v10
	v_med3_i32 v23, v15, 0, 13
	v_cvt_f64_f32_e32 v[14:15], v0
	s_wait_alu 0xfffd
	v_cndmask_b32_e32 v0, v24, v25, vcc_lo
	v_and_b32_e32 v24, 7, v17
	v_add_co_u32 v12, vcc_lo, v2, s22
	v_lshrrev_b32_e32 v25, v23, v21
	s_wait_alu 0xfffd
	v_add_co_ci_u32_e32 v13, vcc_lo, s23, v3, vcc_lo
	v_cmp_lt_i32_e32 vcc_lo, 5, v24
	v_cmp_eq_u32_e64 s0, 3, v24
	v_lshrrev_b32_e32 v17, 2, v17
	v_lshlrev_b32_e32 v23, v23, v25
	v_and_or_b32 v0, 0x8000, v19, v0
	v_add_nc_u32_e32 v18, 0xfffffc10, v18
	s_or_b32 vcc_lo, s0, vcc_lo
	v_mul_f64_e32 v[8:9], s[24:25], v[8:9]
	s_wait_alu 0xfffe
	v_add_co_ci_u32_e32 v17, vcc_lo, 0, v17, vcc_lo
	v_cmp_ne_u32_e64 s1, v23, v21
	v_cmp_ne_u32_e32 vcc_lo, 0, v4
	v_lshl_or_b32 v21, v18, 12, v10
	v_and_b32_e32 v0, 0xffff, v0
	s_wait_alu 0xf1ff
	v_cndmask_b32_e64 v19, 0, 1, s1
	s_wait_alu 0xfffd
	v_cndmask_b32_e64 v4, 0, 1, vcc_lo
	v_cmp_gt_i32_e32 vcc_lo, 31, v16
	s_delay_alu instid0(VALU_DEP_3) | instskip(NEXT) | instid1(VALU_DEP_3)
	v_or_b32_e32 v19, v25, v19
	v_lshl_or_b32 v4, v4, 9, 0x7c00
	s_wait_alu 0xfffd
	v_cndmask_b32_e32 v17, 0x7c00, v17, vcc_lo
	v_cmp_gt_i32_e32 vcc_lo, 1, v18
	v_and_or_b32 v6, 0x1ff, v7, v6
	v_lshrrev_b32_e32 v23, 8, v7
	s_wait_alu 0xfffd
	v_cndmask_b32_e32 v19, v21, v19, vcc_lo
	v_cmp_eq_u32_e32 vcc_lo, 0x40f, v16
	s_wait_alu 0xfffd
	s_delay_alu instid0(VALU_DEP_2)
	v_dual_cndmask_b32 v16, v17, v4 :: v_dual_and_b32 v21, 7, v19
	v_lshrrev_b32_e32 v17, 16, v5
	v_cmp_ne_u32_e32 vcc_lo, 0, v6
	v_mul_f64_e32 v[4:5], s[24:25], v[14:15]
	v_bfe_u32 v14, v7, 20, 11
	v_cmp_eq_u32_e64 s0, 3, v21
	v_and_or_b32 v15, 0x8000, v17, v16
	s_wait_alu 0xfffd
	v_cndmask_b32_e64 v6, 0, 1, vcc_lo
	v_cmp_lt_i32_e32 vcc_lo, 5, v21
	v_sub_nc_u32_e32 v16, 0x3f1, v14
	v_add_nc_u32_e32 v14, 0xfffffc10, v14
	v_lshl_or_b32 v0, v15, 16, v0
	v_lshrrev_b32_e32 v15, 2, v19
	v_and_or_b32 v6, 0xffe, v23, v6
	s_or_b32 vcc_lo, s0, vcc_lo
	v_med3_i32 v16, v16, 0, 13
	v_and_or_b32 v8, 0x1ff, v9, v8
	s_wait_alu 0xfffe
	v_add_co_ci_u32_e32 v15, vcc_lo, 0, v15, vcc_lo
	v_or_b32_e32 v17, 0x1000, v6
	v_cmp_ne_u32_e32 vcc_lo, 0, v10
	v_lshrrev_b32_e32 v21, 8, v9
	v_bfe_u32 v23, v9, 20, 11
	v_lshrrev_b32_e32 v7, 16, v7
	v_lshrrev_b32_e32 v19, v16, v17
	s_wait_alu 0xfffd
	v_cndmask_b32_e64 v10, 0, 1, vcc_lo
	v_cmp_gt_i32_e32 vcc_lo, 31, v18
	v_lshrrev_b32_e32 v9, 16, v9
	v_lshlrev_b32_e32 v16, v16, v19
	s_delay_alu instid0(VALU_DEP_4)
	v_lshl_or_b32 v10, v10, 9, 0x7c00
	s_wait_alu 0xfffd
	v_cndmask_b32_e32 v15, 0x7c00, v15, vcc_lo
	v_cmp_ne_u32_e32 vcc_lo, 0, v8
	s_wait_alu 0xfffd
	v_cndmask_b32_e64 v8, 0, 1, vcc_lo
	v_cmp_ne_u32_e32 vcc_lo, v16, v17
	v_sub_nc_u32_e32 v17, 0x3f1, v23
	v_and_or_b32 v4, 0x1ff, v5, v4
	s_delay_alu instid0(VALU_DEP_4)
	v_and_or_b32 v8, 0xffe, v21, v8
	s_wait_alu 0xfffd
	v_cndmask_b32_e64 v16, 0, 1, vcc_lo
	v_cmp_eq_u32_e32 vcc_lo, 0x40f, v18
	v_med3_i32 v17, v17, 0, 13
	v_bfe_u32 v21, v5, 20, 11
	v_or_b32_e32 v18, 0x1000, v8
	s_wait_alu 0xfffd
	v_cndmask_b32_e32 v10, v15, v10, vcc_lo
	v_or_b32_e32 v15, v19, v16
	v_lshl_or_b32 v16, v14, 12, v6
	v_cmp_gt_i32_e32 vcc_lo, 1, v14
	v_lshrrev_b32_e32 v19, 8, v5
	v_and_or_b32 v10, 0x8000, v11, v10
	v_sub_nc_u32_e32 v11, 0x3f1, v21
	s_wait_alu 0xfffd
	v_cndmask_b32_e32 v15, v16, v15, vcc_lo
	v_lshrrev_b32_e32 v16, v17, v18
	v_cmp_ne_u32_e32 vcc_lo, 0, v4
	v_med3_i32 v11, v11, 0, 13
	s_delay_alu instid0(VALU_DEP_4) | instskip(NEXT) | instid1(VALU_DEP_4)
	v_and_b32_e32 v24, 7, v15
	v_lshlrev_b32_e32 v17, v17, v16
	s_wait_alu 0xfffd
	v_cndmask_b32_e64 v4, 0, 1, vcc_lo
	v_lshrrev_b32_e32 v15, 2, v15
	v_cmp_lt_i32_e32 vcc_lo, 5, v24
	v_cmp_ne_u32_e64 s0, v17, v18
	s_delay_alu instid0(VALU_DEP_4) | instskip(SKIP_2) | instid1(VALU_DEP_3)
	v_and_or_b32 v4, 0xffe, v19, v4
	v_add_nc_u32_e32 v19, 0xfffffc10, v23
	s_wait_alu 0xf1ff
	v_cndmask_b32_e64 v17, 0, 1, s0
	v_cmp_eq_u32_e64 s0, 3, v24
	v_or_b32_e32 v18, 0x1000, v4
	v_lshl_or_b32 v23, v19, 12, v8
	s_delay_alu instid0(VALU_DEP_4) | instskip(NEXT) | instid1(VALU_DEP_4)
	v_or_b32_e32 v16, v16, v17
	s_or_b32 vcc_lo, s0, vcc_lo
	s_delay_alu instid0(VALU_DEP_3) | instskip(SKIP_3) | instid1(VALU_DEP_3)
	v_lshrrev_b32_e32 v17, v11, v18
	s_wait_alu 0xfffe
	v_add_co_ci_u32_e32 v15, vcc_lo, 0, v15, vcc_lo
	v_cmp_gt_i32_e32 vcc_lo, 1, v19
	v_lshlrev_b32_e32 v11, v11, v17
	s_wait_alu 0xfffd
	v_cndmask_b32_e32 v16, v23, v16, vcc_lo
	v_cmp_ne_u32_e32 vcc_lo, 0, v6
	s_wait_alu 0xfffd
	v_cndmask_b32_e64 v6, 0, 1, vcc_lo
	v_cmp_ne_u32_e32 vcc_lo, v11, v18
	v_add_nc_u32_e32 v18, 0xfffffc10, v21
	v_and_b32_e32 v21, 7, v16
	s_delay_alu instid0(VALU_DEP_4)
	v_lshl_or_b32 v6, v6, 9, 0x7c00
	s_wait_alu 0xfffd
	v_cndmask_b32_e64 v11, 0, 1, vcc_lo
	v_cmp_gt_i32_e32 vcc_lo, 31, v14
	v_cmp_gt_i32_e64 s1, 1, v18
	v_cmp_eq_u32_e64 s0, 3, v21
	s_delay_alu instid0(VALU_DEP_4)
	v_or_b32_e32 v11, v17, v11
	v_lshl_or_b32 v17, v18, 12, v4
	s_wait_alu 0xfffd
	v_cndmask_b32_e32 v15, 0x7c00, v15, vcc_lo
	v_cmp_lt_i32_e32 vcc_lo, 5, v21
	s_wait_alu 0xf1ff
	v_cndmask_b32_e64 v11, v17, v11, s1
	v_cmp_eq_u32_e64 s1, 0x40f, v14
	v_lshrrev_b32_e32 v14, 2, v16
	s_or_b32 vcc_lo, s0, vcc_lo
	s_delay_alu instid0(VALU_DEP_2) | instskip(SKIP_1) | instid1(VALU_DEP_2)
	v_cndmask_b32_e64 v6, v15, v6, s1
	s_wait_alu 0xfffe
	v_add_co_ci_u32_e32 v14, vcc_lo, 0, v14, vcc_lo
	v_and_b32_e32 v15, 7, v11
	v_cmp_ne_u32_e32 vcc_lo, 0, v8
	v_lshrrev_b32_e32 v11, 2, v11
	v_cmp_gt_i32_e64 s1, 31, v19
	v_and_or_b32 v6, 0x8000, v7, v6
	v_cmp_eq_u32_e64 s0, 3, v15
	s_wait_alu 0xfffd
	v_cndmask_b32_e64 v8, 0, 1, vcc_lo
	v_cmp_lt_i32_e32 vcc_lo, 5, v15
	s_wait_alu 0xf1ff
	v_cndmask_b32_e64 v14, 0x7c00, v14, s1
	v_and_b32_e32 v7, 0xffff, v10
	v_lshrrev_b32_e32 v10, 16, v5
	v_lshl_or_b32 v8, v8, 9, 0x7c00
	s_or_b32 vcc_lo, s0, vcc_lo
	s_wait_alu 0xfffe
	v_add_co_ci_u32_e32 v11, vcc_lo, 0, v11, vcc_lo
	v_cmp_ne_u32_e32 vcc_lo, 0, v4
	s_wait_alu 0xfffd
	v_cndmask_b32_e64 v4, 0, 1, vcc_lo
	v_cmp_eq_u32_e32 vcc_lo, 0x40f, v19
	s_delay_alu instid0(VALU_DEP_2) | instskip(SKIP_3) | instid1(VALU_DEP_2)
	v_lshl_or_b32 v4, v4, 9, 0x7c00
	s_wait_alu 0xfffd
	v_cndmask_b32_e32 v8, v14, v8, vcc_lo
	v_cmp_gt_i32_e32 vcc_lo, 31, v18
	v_and_or_b32 v8, 0x8000, v9, v8
	s_wait_alu 0xfffd
	v_cndmask_b32_e32 v11, 0x7c00, v11, vcc_lo
	v_cmp_eq_u32_e32 vcc_lo, 0x40f, v18
	s_delay_alu instid0(VALU_DEP_3) | instskip(SKIP_1) | instid1(VALU_DEP_3)
	v_and_b32_e32 v8, 0xffff, v8
	s_wait_alu 0xfffd
	v_cndmask_b32_e32 v9, v11, v4, vcc_lo
	v_add_co_u32 v4, vcc_lo, v12, s22
	s_wait_alu 0xfffd
	v_add_co_ci_u32_e32 v5, vcc_lo, s23, v13, vcc_lo
	v_lshl_or_b32 v11, v6, 16, v7
	v_and_or_b32 v9, 0x8000, v10, v9
	v_add_co_u32 v6, vcc_lo, v4, s22
	s_wait_alu 0xfffd
	v_add_co_ci_u32_e32 v7, vcc_lo, s23, v5, vcc_lo
	s_delay_alu instid0(VALU_DEP_3) | instskip(NEXT) | instid1(VALU_DEP_3)
	v_lshl_or_b32 v10, v9, 16, v8
	v_add_co_u32 v8, vcc_lo, v6, s22
	s_wait_alu 0xfffd
	s_delay_alu instid0(VALU_DEP_3)
	v_add_co_ci_u32_e32 v9, vcc_lo, s23, v7, vcc_lo
	global_store_b32 v[2:3], v20, off
	global_store_b32 v[12:13], v22, off
	;; [unrolled: 1-line block ×5, first 2 shown]
	global_load_b32 v0, v40, s[20:21] offset:6048
	v_lshrrev_b32_e32 v2, 16, v1
	s_wait_loadcnt 0x0
	v_lshrrev_b32_e32 v3, 16, v0
	s_delay_alu instid0(VALU_DEP_1) | instskip(SKIP_1) | instid1(VALU_DEP_2)
	v_mul_f16_e32 v4, v2, v3
	v_mul_f16_e32 v3, v1, v3
	v_fmac_f16_e32 v4, v1, v0
	s_delay_alu instid0(VALU_DEP_2) | instskip(NEXT) | instid1(VALU_DEP_2)
	v_fma_f16 v0, v0, v2, -v3
	v_cvt_f32_f16_e32 v1, v4
	s_delay_alu instid0(VALU_DEP_2) | instskip(NEXT) | instid1(VALU_DEP_2)
	v_cvt_f32_f16_e32 v2, v0
	v_cvt_f64_f32_e32 v[0:1], v1
	s_delay_alu instid0(VALU_DEP_2) | instskip(NEXT) | instid1(VALU_DEP_2)
	v_cvt_f64_f32_e32 v[2:3], v2
	v_mul_f64_e32 v[0:1], s[24:25], v[0:1]
	s_delay_alu instid0(VALU_DEP_2) | instskip(NEXT) | instid1(VALU_DEP_2)
	v_mul_f64_e32 v[2:3], s[24:25], v[2:3]
	v_and_or_b32 v0, 0x1ff, v1, v0
	s_delay_alu instid0(VALU_DEP_2)
	v_and_or_b32 v2, 0x1ff, v3, v2
	v_lshrrev_b32_e32 v4, 8, v1
	v_bfe_u32 v5, v1, 20, 11
	v_lshrrev_b32_e32 v6, 8, v3
	v_cmp_ne_u32_e32 vcc_lo, 0, v0
	v_bfe_u32 v7, v3, 20, 11
	v_lshrrev_b32_e32 v1, 16, v1
	v_lshrrev_b32_e32 v3, 16, v3
	s_wait_alu 0xfffd
	v_cndmask_b32_e64 v0, 0, 1, vcc_lo
	v_cmp_ne_u32_e32 vcc_lo, 0, v2
	s_delay_alu instid0(VALU_DEP_2)
	v_and_or_b32 v0, 0xffe, v4, v0
	s_wait_alu 0xfffd
	v_cndmask_b32_e64 v2, 0, 1, vcc_lo
	v_sub_nc_u32_e32 v4, 0x3f1, v5
	v_add_nc_u32_e32 v5, 0xfffffc10, v5
	v_or_b32_e32 v10, 0x1000, v0
	s_delay_alu instid0(VALU_DEP_4) | instskip(SKIP_3) | instid1(VALU_DEP_4)
	v_and_or_b32 v2, 0xffe, v6, v2
	v_sub_nc_u32_e32 v6, 0x3f1, v7
	v_med3_i32 v4, v4, 0, 13
	v_add_nc_u32_e32 v7, 0xfffffc10, v7
	v_or_b32_e32 v11, 0x1000, v2
	s_delay_alu instid0(VALU_DEP_4) | instskip(NEXT) | instid1(VALU_DEP_4)
	v_med3_i32 v6, v6, 0, 13
	v_lshrrev_b32_e32 v12, v4, v10
	s_delay_alu instid0(VALU_DEP_2) | instskip(NEXT) | instid1(VALU_DEP_2)
	v_lshrrev_b32_e32 v13, v6, v11
	v_lshlrev_b32_e32 v4, v4, v12
	s_delay_alu instid0(VALU_DEP_2) | instskip(NEXT) | instid1(VALU_DEP_2)
	v_lshlrev_b32_e32 v6, v6, v13
	v_cmp_ne_u32_e32 vcc_lo, v4, v10
	v_lshl_or_b32 v10, v5, 12, v0
	s_wait_alu 0xfffd
	v_cndmask_b32_e64 v4, 0, 1, vcc_lo
	v_cmp_ne_u32_e32 vcc_lo, v6, v11
	v_lshl_or_b32 v11, v7, 12, v2
	s_delay_alu instid0(VALU_DEP_3) | instskip(SKIP_3) | instid1(VALU_DEP_2)
	v_or_b32_e32 v4, v12, v4
	s_wait_alu 0xfffd
	v_cndmask_b32_e64 v6, 0, 1, vcc_lo
	v_cmp_gt_i32_e32 vcc_lo, 1, v5
	v_or_b32_e32 v6, v13, v6
	s_wait_alu 0xfffd
	v_cndmask_b32_e32 v4, v10, v4, vcc_lo
	v_cmp_gt_i32_e32 vcc_lo, 1, v7
	s_delay_alu instid0(VALU_DEP_2) | instskip(SKIP_3) | instid1(VALU_DEP_3)
	v_and_b32_e32 v10, 7, v4
	s_wait_alu 0xfffd
	v_cndmask_b32_e32 v6, v11, v6, vcc_lo
	v_lshrrev_b32_e32 v4, 2, v4
	v_cmp_lt_i32_e32 vcc_lo, 5, v10
	s_delay_alu instid0(VALU_DEP_3) | instskip(SKIP_2) | instid1(VALU_DEP_3)
	v_and_b32_e32 v11, 7, v6
	v_cmp_eq_u32_e64 s0, 3, v10
	v_lshrrev_b32_e32 v6, 2, v6
	v_cmp_lt_i32_e64 s1, 5, v11
	s_delay_alu instid0(VALU_DEP_3)
	s_or_b32 vcc_lo, s0, vcc_lo
	v_cmp_eq_u32_e64 s2, 3, v11
	s_wait_alu 0xfffe
	v_add_co_ci_u32_e32 v4, vcc_lo, 0, v4, vcc_lo
	v_cmp_ne_u32_e32 vcc_lo, 0, v0
	s_wait_alu 0xfffd
	v_cndmask_b32_e64 v0, 0, 1, vcc_lo
	s_or_b32 vcc_lo, s2, s1
	s_wait_alu 0xfffe
	v_add_co_ci_u32_e32 v6, vcc_lo, 0, v6, vcc_lo
	v_cmp_ne_u32_e32 vcc_lo, 0, v2
	v_lshl_or_b32 v0, v0, 9, 0x7c00
	s_wait_alu 0xfffd
	v_cndmask_b32_e64 v2, 0, 1, vcc_lo
	v_cmp_gt_i32_e32 vcc_lo, 31, v5
	s_delay_alu instid0(VALU_DEP_2)
	v_lshl_or_b32 v2, v2, 9, 0x7c00
	s_wait_alu 0xfffd
	v_cndmask_b32_e32 v4, 0x7c00, v4, vcc_lo
	v_cmp_gt_i32_e32 vcc_lo, 31, v7
	s_wait_alu 0xfffd
	v_cndmask_b32_e32 v6, 0x7c00, v6, vcc_lo
	v_cmp_eq_u32_e32 vcc_lo, 0x40f, v5
	s_wait_alu 0xfffd
	v_cndmask_b32_e32 v0, v4, v0, vcc_lo
	v_cmp_eq_u32_e32 vcc_lo, 0x40f, v7
	s_delay_alu instid0(VALU_DEP_2) | instskip(SKIP_2) | instid1(VALU_DEP_2)
	v_and_or_b32 v0, 0x8000, v1, v0
	s_wait_alu 0xfffd
	v_cndmask_b32_e32 v2, v6, v2, vcc_lo
	v_and_b32_e32 v0, 0xffff, v0
	s_delay_alu instid0(VALU_DEP_2) | instskip(NEXT) | instid1(VALU_DEP_1)
	v_and_or_b32 v1, 0x8000, v3, v2
	v_lshl_or_b32 v2, v1, 16, v0
	v_add_co_u32 v0, vcc_lo, v8, s22
	s_wait_alu 0xfffd
	v_add_co_ci_u32_e32 v1, vcc_lo, s23, v9, vcc_lo
	global_store_b32 v[0:1], v2, off
.LBB0_31:
	s_nop 0
	s_sendmsg sendmsg(MSG_DEALLOC_VGPRS)
	s_endpgm
	.section	.rodata,"a",@progbits
	.p2align	6, 0x0
	.amdhsa_kernel bluestein_single_back_len1638_dim1_half_op_CI_CI
		.amdhsa_group_segment_fixed_size 6552
		.amdhsa_private_segment_fixed_size 0
		.amdhsa_kernarg_size 104
		.amdhsa_user_sgpr_count 2
		.amdhsa_user_sgpr_dispatch_ptr 0
		.amdhsa_user_sgpr_queue_ptr 0
		.amdhsa_user_sgpr_kernarg_segment_ptr 1
		.amdhsa_user_sgpr_dispatch_id 0
		.amdhsa_user_sgpr_private_segment_size 0
		.amdhsa_wavefront_size32 1
		.amdhsa_uses_dynamic_stack 0
		.amdhsa_enable_private_segment 0
		.amdhsa_system_sgpr_workgroup_id_x 1
		.amdhsa_system_sgpr_workgroup_id_y 0
		.amdhsa_system_sgpr_workgroup_id_z 0
		.amdhsa_system_sgpr_workgroup_info 0
		.amdhsa_system_vgpr_workitem_id 0
		.amdhsa_next_free_vgpr 199
		.amdhsa_next_free_sgpr 26
		.amdhsa_reserve_vcc 1
		.amdhsa_float_round_mode_32 0
		.amdhsa_float_round_mode_16_64 0
		.amdhsa_float_denorm_mode_32 3
		.amdhsa_float_denorm_mode_16_64 3
		.amdhsa_fp16_overflow 0
		.amdhsa_workgroup_processor_mode 1
		.amdhsa_memory_ordered 1
		.amdhsa_forward_progress 0
		.amdhsa_round_robin_scheduling 0
		.amdhsa_exception_fp_ieee_invalid_op 0
		.amdhsa_exception_fp_denorm_src 0
		.amdhsa_exception_fp_ieee_div_zero 0
		.amdhsa_exception_fp_ieee_overflow 0
		.amdhsa_exception_fp_ieee_underflow 0
		.amdhsa_exception_fp_ieee_inexact 0
		.amdhsa_exception_int_div_zero 0
	.end_amdhsa_kernel
	.text
.Lfunc_end0:
	.size	bluestein_single_back_len1638_dim1_half_op_CI_CI, .Lfunc_end0-bluestein_single_back_len1638_dim1_half_op_CI_CI
                                        ; -- End function
	.section	.AMDGPU.csdata,"",@progbits
; Kernel info:
; codeLenInByte = 27064
; NumSgprs: 28
; NumVgprs: 199
; ScratchSize: 0
; MemoryBound: 0
; FloatMode: 240
; IeeeMode: 1
; LDSByteSize: 6552 bytes/workgroup (compile time only)
; SGPRBlocks: 3
; VGPRBlocks: 24
; NumSGPRsForWavesPerEU: 28
; NumVGPRsForWavesPerEU: 199
; Occupancy: 7
; WaveLimiterHint : 1
; COMPUTE_PGM_RSRC2:SCRATCH_EN: 0
; COMPUTE_PGM_RSRC2:USER_SGPR: 2
; COMPUTE_PGM_RSRC2:TRAP_HANDLER: 0
; COMPUTE_PGM_RSRC2:TGID_X_EN: 1
; COMPUTE_PGM_RSRC2:TGID_Y_EN: 0
; COMPUTE_PGM_RSRC2:TGID_Z_EN: 0
; COMPUTE_PGM_RSRC2:TIDIG_COMP_CNT: 0
	.text
	.p2alignl 7, 3214868480
	.fill 96, 4, 3214868480
	.type	__hip_cuid_4e4e3085496e198,@object ; @__hip_cuid_4e4e3085496e198
	.section	.bss,"aw",@nobits
	.globl	__hip_cuid_4e4e3085496e198
__hip_cuid_4e4e3085496e198:
	.byte	0                               ; 0x0
	.size	__hip_cuid_4e4e3085496e198, 1

	.ident	"AMD clang version 19.0.0git (https://github.com/RadeonOpenCompute/llvm-project roc-6.4.0 25133 c7fe45cf4b819c5991fe208aaa96edf142730f1d)"
	.section	".note.GNU-stack","",@progbits
	.addrsig
	.addrsig_sym __hip_cuid_4e4e3085496e198
	.amdgpu_metadata
---
amdhsa.kernels:
  - .args:
      - .actual_access:  read_only
        .address_space:  global
        .offset:         0
        .size:           8
        .value_kind:     global_buffer
      - .actual_access:  read_only
        .address_space:  global
        .offset:         8
        .size:           8
        .value_kind:     global_buffer
      - .actual_access:  read_only
        .address_space:  global
        .offset:         16
        .size:           8
        .value_kind:     global_buffer
      - .actual_access:  read_only
        .address_space:  global
        .offset:         24
        .size:           8
        .value_kind:     global_buffer
      - .actual_access:  read_only
        .address_space:  global
        .offset:         32
        .size:           8
        .value_kind:     global_buffer
      - .offset:         40
        .size:           8
        .value_kind:     by_value
      - .address_space:  global
        .offset:         48
        .size:           8
        .value_kind:     global_buffer
      - .address_space:  global
        .offset:         56
        .size:           8
        .value_kind:     global_buffer
      - .address_space:  global
        .offset:         64
        .size:           8
        .value_kind:     global_buffer
      - .address_space:  global
        .offset:         72
        .size:           8
        .value_kind:     global_buffer
      - .offset:         80
        .size:           4
        .value_kind:     by_value
      - .address_space:  global
        .offset:         88
        .size:           8
        .value_kind:     global_buffer
      - .address_space:  global
        .offset:         96
        .size:           8
        .value_kind:     global_buffer
    .group_segment_fixed_size: 6552
    .kernarg_segment_align: 8
    .kernarg_segment_size: 104
    .language:       OpenCL C
    .language_version:
      - 2
      - 0
    .max_flat_workgroup_size: 182
    .name:           bluestein_single_back_len1638_dim1_half_op_CI_CI
    .private_segment_fixed_size: 0
    .sgpr_count:     28
    .sgpr_spill_count: 0
    .symbol:         bluestein_single_back_len1638_dim1_half_op_CI_CI.kd
    .uniform_work_group_size: 1
    .uses_dynamic_stack: false
    .vgpr_count:     199
    .vgpr_spill_count: 0
    .wavefront_size: 32
    .workgroup_processor_mode: 1
amdhsa.target:   amdgcn-amd-amdhsa--gfx1201
amdhsa.version:
  - 1
  - 2
...

	.end_amdgpu_metadata
